;; amdgpu-corpus repo=ROCm/rocFFT kind=compiled arch=gfx1201 opt=O3
	.text
	.amdgcn_target "amdgcn-amd-amdhsa--gfx1201"
	.amdhsa_code_object_version 6
	.protected	fft_rtc_back_len578_factors_17_17_2_wgs_238_tpt_34_halfLds_sp_op_CI_CI_unitstride_sbrr_dirReg ; -- Begin function fft_rtc_back_len578_factors_17_17_2_wgs_238_tpt_34_halfLds_sp_op_CI_CI_unitstride_sbrr_dirReg
	.globl	fft_rtc_back_len578_factors_17_17_2_wgs_238_tpt_34_halfLds_sp_op_CI_CI_unitstride_sbrr_dirReg
	.p2align	8
	.type	fft_rtc_back_len578_factors_17_17_2_wgs_238_tpt_34_halfLds_sp_op_CI_CI_unitstride_sbrr_dirReg,@function
fft_rtc_back_len578_factors_17_17_2_wgs_238_tpt_34_halfLds_sp_op_CI_CI_unitstride_sbrr_dirReg: ; @fft_rtc_back_len578_factors_17_17_2_wgs_238_tpt_34_halfLds_sp_op_CI_CI_unitstride_sbrr_dirReg
; %bb.0:
	s_load_b128 s[4:7], s[0:1], 0x0
	v_mul_u32_u24_e32 v1, 0x788, v0
	s_clause 0x1
	s_load_b128 s[8:11], s[0:1], 0x58
	s_load_b128 s[12:15], s[0:1], 0x18
	v_mov_b32_e32 v34, 0
	v_lshrrev_b32_e32 v2, 16, v1
	v_mov_b32_e32 v1, 0
	v_mov_b32_e32 v35, 0
	s_delay_alu instid0(VALU_DEP_3) | instskip(NEXT) | instid1(VALU_DEP_3)
	v_mad_co_u64_u32 v[23:24], null, ttmp9, 7, v[2:3]
	v_dual_mov_b32 v24, v1 :: v_dual_mov_b32 v3, v34
	s_delay_alu instid0(VALU_DEP_2) | instskip(NEXT) | instid1(VALU_DEP_2)
	v_dual_mov_b32 v4, v35 :: v_dual_mov_b32 v5, v23
	v_mov_b32_e32 v6, v24
	s_wait_kmcnt 0x0
	v_cmp_lt_u64_e64 s2, s[6:7], 2
	s_delay_alu instid0(VALU_DEP_1)
	s_and_b32 vcc_lo, exec_lo, s2
	s_cbranch_vccnz .LBB0_8
; %bb.1:
	s_load_b64 s[2:3], s[0:1], 0x10
	v_dual_mov_b32 v34, 0 :: v_dual_mov_b32 v7, v23
	v_dual_mov_b32 v35, 0 :: v_dual_mov_b32 v8, v24
	s_delay_alu instid0(VALU_DEP_2) | instskip(SKIP_2) | instid1(VALU_DEP_2)
	v_mov_b32_e32 v3, v34
	s_add_nc_u64 s[16:17], s[14:15], 8
	s_add_nc_u64 s[18:19], s[12:13], 8
	v_mov_b32_e32 v4, v35
	s_mov_b64 s[20:21], 1
	s_wait_kmcnt 0x0
	s_add_nc_u64 s[22:23], s[2:3], 8
	s_mov_b32 s3, 0
.LBB0_2:                                ; =>This Inner Loop Header: Depth=1
	s_load_b64 s[24:25], s[22:23], 0x0
                                        ; implicit-def: $vgpr5_vgpr6
	s_mov_b32 s2, exec_lo
	s_wait_kmcnt 0x0
	v_or_b32_e32 v2, s25, v8
	s_delay_alu instid0(VALU_DEP_1)
	v_cmpx_ne_u64_e32 0, v[1:2]
	s_wait_alu 0xfffe
	s_xor_b32 s26, exec_lo, s2
	s_cbranch_execz .LBB0_4
; %bb.3:                                ;   in Loop: Header=BB0_2 Depth=1
	s_cvt_f32_u32 s2, s24
	s_cvt_f32_u32 s27, s25
	s_sub_nc_u64 s[30:31], 0, s[24:25]
	s_wait_alu 0xfffe
	s_delay_alu instid0(SALU_CYCLE_1) | instskip(SKIP_1) | instid1(SALU_CYCLE_2)
	s_fmamk_f32 s2, s27, 0x4f800000, s2
	s_wait_alu 0xfffe
	v_s_rcp_f32 s2, s2
	s_delay_alu instid0(TRANS32_DEP_1) | instskip(SKIP_1) | instid1(SALU_CYCLE_2)
	s_mul_f32 s2, s2, 0x5f7ffffc
	s_wait_alu 0xfffe
	s_mul_f32 s27, s2, 0x2f800000
	s_wait_alu 0xfffe
	s_delay_alu instid0(SALU_CYCLE_2) | instskip(SKIP_1) | instid1(SALU_CYCLE_2)
	s_trunc_f32 s27, s27
	s_wait_alu 0xfffe
	s_fmamk_f32 s2, s27, 0xcf800000, s2
	s_cvt_u32_f32 s29, s27
	s_wait_alu 0xfffe
	s_delay_alu instid0(SALU_CYCLE_1) | instskip(SKIP_1) | instid1(SALU_CYCLE_2)
	s_cvt_u32_f32 s28, s2
	s_wait_alu 0xfffe
	s_mul_u64 s[34:35], s[30:31], s[28:29]
	s_wait_alu 0xfffe
	s_mul_hi_u32 s37, s28, s35
	s_mul_i32 s36, s28, s35
	s_mul_hi_u32 s2, s28, s34
	s_mul_i32 s33, s29, s34
	s_wait_alu 0xfffe
	s_add_nc_u64 s[36:37], s[2:3], s[36:37]
	s_mul_hi_u32 s27, s29, s34
	s_mul_hi_u32 s38, s29, s35
	s_add_co_u32 s2, s36, s33
	s_wait_alu 0xfffe
	s_add_co_ci_u32 s2, s37, s27
	s_mul_i32 s34, s29, s35
	s_add_co_ci_u32 s35, s38, 0
	s_wait_alu 0xfffe
	s_add_nc_u64 s[34:35], s[2:3], s[34:35]
	s_wait_alu 0xfffe
	v_add_co_u32 v2, s2, s28, s34
	s_delay_alu instid0(VALU_DEP_1) | instskip(SKIP_1) | instid1(VALU_DEP_1)
	s_cmp_lg_u32 s2, 0
	s_add_co_ci_u32 s29, s29, s35
	v_readfirstlane_b32 s28, v2
	s_wait_alu 0xfffe
	s_delay_alu instid0(VALU_DEP_1)
	s_mul_u64 s[30:31], s[30:31], s[28:29]
	s_wait_alu 0xfffe
	s_mul_hi_u32 s35, s28, s31
	s_mul_i32 s34, s28, s31
	s_mul_hi_u32 s2, s28, s30
	s_mul_i32 s33, s29, s30
	s_wait_alu 0xfffe
	s_add_nc_u64 s[34:35], s[2:3], s[34:35]
	s_mul_hi_u32 s27, s29, s30
	s_mul_hi_u32 s28, s29, s31
	s_wait_alu 0xfffe
	s_add_co_u32 s2, s34, s33
	s_add_co_ci_u32 s2, s35, s27
	s_mul_i32 s30, s29, s31
	s_add_co_ci_u32 s31, s28, 0
	s_wait_alu 0xfffe
	s_add_nc_u64 s[30:31], s[2:3], s[30:31]
	s_wait_alu 0xfffe
	v_add_co_u32 v2, s2, v2, s30
	s_delay_alu instid0(VALU_DEP_1) | instskip(SKIP_1) | instid1(VALU_DEP_1)
	s_cmp_lg_u32 s2, 0
	s_add_co_ci_u32 s2, s29, s31
	v_mul_hi_u32 v13, v7, v2
	s_wait_alu 0xfffe
	v_mad_co_u64_u32 v[5:6], null, v7, s2, 0
	v_mad_co_u64_u32 v[9:10], null, v8, v2, 0
	;; [unrolled: 1-line block ×3, first 2 shown]
	s_delay_alu instid0(VALU_DEP_3) | instskip(SKIP_1) | instid1(VALU_DEP_4)
	v_add_co_u32 v2, vcc_lo, v13, v5
	s_wait_alu 0xfffd
	v_add_co_ci_u32_e32 v5, vcc_lo, 0, v6, vcc_lo
	s_delay_alu instid0(VALU_DEP_2) | instskip(SKIP_1) | instid1(VALU_DEP_2)
	v_add_co_u32 v2, vcc_lo, v2, v9
	s_wait_alu 0xfffd
	v_add_co_ci_u32_e32 v2, vcc_lo, v5, v10, vcc_lo
	s_wait_alu 0xfffd
	v_add_co_ci_u32_e32 v5, vcc_lo, 0, v12, vcc_lo
	s_delay_alu instid0(VALU_DEP_2) | instskip(SKIP_1) | instid1(VALU_DEP_2)
	v_add_co_u32 v2, vcc_lo, v2, v11
	s_wait_alu 0xfffd
	v_add_co_ci_u32_e32 v9, vcc_lo, 0, v5, vcc_lo
	s_delay_alu instid0(VALU_DEP_2) | instskip(SKIP_1) | instid1(VALU_DEP_3)
	v_mul_lo_u32 v10, s25, v2
	v_mad_co_u64_u32 v[5:6], null, s24, v2, 0
	v_mul_lo_u32 v11, s24, v9
	s_delay_alu instid0(VALU_DEP_2) | instskip(NEXT) | instid1(VALU_DEP_2)
	v_sub_co_u32 v5, vcc_lo, v7, v5
	v_add3_u32 v6, v6, v11, v10
	s_delay_alu instid0(VALU_DEP_1) | instskip(SKIP_1) | instid1(VALU_DEP_1)
	v_sub_nc_u32_e32 v10, v8, v6
	s_wait_alu 0xfffd
	v_subrev_co_ci_u32_e64 v10, s2, s25, v10, vcc_lo
	v_add_co_u32 v11, s2, v2, 2
	s_wait_alu 0xf1ff
	v_add_co_ci_u32_e64 v12, s2, 0, v9, s2
	v_sub_co_u32 v13, s2, v5, s24
	v_sub_co_ci_u32_e32 v6, vcc_lo, v8, v6, vcc_lo
	s_wait_alu 0xf1ff
	v_subrev_co_ci_u32_e64 v10, s2, 0, v10, s2
	s_delay_alu instid0(VALU_DEP_3) | instskip(NEXT) | instid1(VALU_DEP_3)
	v_cmp_le_u32_e32 vcc_lo, s24, v13
	v_cmp_eq_u32_e64 s2, s25, v6
	s_wait_alu 0xfffd
	v_cndmask_b32_e64 v13, 0, -1, vcc_lo
	v_cmp_le_u32_e32 vcc_lo, s25, v10
	s_wait_alu 0xfffd
	v_cndmask_b32_e64 v14, 0, -1, vcc_lo
	v_cmp_le_u32_e32 vcc_lo, s24, v5
	;; [unrolled: 3-line block ×3, first 2 shown]
	s_wait_alu 0xfffd
	v_cndmask_b32_e64 v15, 0, -1, vcc_lo
	v_cmp_eq_u32_e32 vcc_lo, s25, v10
	s_wait_alu 0xf1ff
	s_delay_alu instid0(VALU_DEP_2)
	v_cndmask_b32_e64 v5, v15, v5, s2
	s_wait_alu 0xfffd
	v_cndmask_b32_e32 v10, v14, v13, vcc_lo
	v_add_co_u32 v13, vcc_lo, v2, 1
	s_wait_alu 0xfffd
	v_add_co_ci_u32_e32 v14, vcc_lo, 0, v9, vcc_lo
	s_delay_alu instid0(VALU_DEP_3) | instskip(SKIP_1) | instid1(VALU_DEP_2)
	v_cmp_ne_u32_e32 vcc_lo, 0, v10
	s_wait_alu 0xfffd
	v_cndmask_b32_e32 v6, v14, v12, vcc_lo
	v_cndmask_b32_e32 v10, v13, v11, vcc_lo
	v_cmp_ne_u32_e32 vcc_lo, 0, v5
	s_wait_alu 0xfffd
	s_delay_alu instid0(VALU_DEP_3) | instskip(NEXT) | instid1(VALU_DEP_3)
	v_cndmask_b32_e32 v6, v9, v6, vcc_lo
	v_cndmask_b32_e32 v5, v2, v10, vcc_lo
.LBB0_4:                                ;   in Loop: Header=BB0_2 Depth=1
	s_wait_alu 0xfffe
	s_and_not1_saveexec_b32 s2, s26
	s_cbranch_execz .LBB0_6
; %bb.5:                                ;   in Loop: Header=BB0_2 Depth=1
	v_cvt_f32_u32_e32 v2, s24
	s_sub_co_i32 s26, 0, s24
	s_delay_alu instid0(VALU_DEP_1) | instskip(NEXT) | instid1(TRANS32_DEP_1)
	v_rcp_iflag_f32_e32 v2, v2
	v_mul_f32_e32 v2, 0x4f7ffffe, v2
	s_delay_alu instid0(VALU_DEP_1) | instskip(SKIP_1) | instid1(VALU_DEP_1)
	v_cvt_u32_f32_e32 v2, v2
	s_wait_alu 0xfffe
	v_mul_lo_u32 v5, s26, v2
	s_delay_alu instid0(VALU_DEP_1) | instskip(NEXT) | instid1(VALU_DEP_1)
	v_mul_hi_u32 v5, v2, v5
	v_add_nc_u32_e32 v2, v2, v5
	s_delay_alu instid0(VALU_DEP_1) | instskip(NEXT) | instid1(VALU_DEP_1)
	v_mul_hi_u32 v2, v7, v2
	v_mul_lo_u32 v5, v2, s24
	v_add_nc_u32_e32 v6, 1, v2
	s_delay_alu instid0(VALU_DEP_2) | instskip(NEXT) | instid1(VALU_DEP_1)
	v_sub_nc_u32_e32 v5, v7, v5
	v_subrev_nc_u32_e32 v9, s24, v5
	v_cmp_le_u32_e32 vcc_lo, s24, v5
	s_wait_alu 0xfffd
	s_delay_alu instid0(VALU_DEP_2) | instskip(NEXT) | instid1(VALU_DEP_1)
	v_dual_cndmask_b32 v5, v5, v9 :: v_dual_cndmask_b32 v2, v2, v6
	v_cmp_le_u32_e32 vcc_lo, s24, v5
	s_delay_alu instid0(VALU_DEP_2) | instskip(SKIP_1) | instid1(VALU_DEP_1)
	v_add_nc_u32_e32 v6, 1, v2
	s_wait_alu 0xfffd
	v_dual_cndmask_b32 v5, v2, v6 :: v_dual_mov_b32 v6, v1
.LBB0_6:                                ;   in Loop: Header=BB0_2 Depth=1
	s_wait_alu 0xfffe
	s_or_b32 exec_lo, exec_lo, s2
	s_delay_alu instid0(VALU_DEP_1) | instskip(NEXT) | instid1(VALU_DEP_2)
	v_mul_lo_u32 v2, v6, s24
	v_mul_lo_u32 v11, v5, s25
	s_load_b64 s[26:27], s[18:19], 0x0
	v_mad_co_u64_u32 v[9:10], null, v5, s24, 0
	s_load_b64 s[24:25], s[16:17], 0x0
	s_add_nc_u64 s[20:21], s[20:21], 1
	s_add_nc_u64 s[16:17], s[16:17], 8
	s_wait_alu 0xfffe
	v_cmp_ge_u64_e64 s2, s[20:21], s[6:7]
	s_add_nc_u64 s[18:19], s[18:19], 8
	s_add_nc_u64 s[22:23], s[22:23], 8
	v_add3_u32 v2, v10, v11, v2
	v_sub_co_u32 v7, vcc_lo, v7, v9
	s_wait_alu 0xfffd
	s_delay_alu instid0(VALU_DEP_2) | instskip(SKIP_2) | instid1(VALU_DEP_1)
	v_sub_co_ci_u32_e32 v2, vcc_lo, v8, v2, vcc_lo
	s_and_b32 vcc_lo, exec_lo, s2
	s_wait_kmcnt 0x0
	v_mul_lo_u32 v8, s26, v2
	v_mul_lo_u32 v9, s27, v7
	v_mad_co_u64_u32 v[34:35], null, s26, v7, v[34:35]
	v_mul_lo_u32 v2, s24, v2
	v_mul_lo_u32 v10, s25, v7
	v_mad_co_u64_u32 v[3:4], null, s24, v7, v[3:4]
	s_delay_alu instid0(VALU_DEP_4) | instskip(NEXT) | instid1(VALU_DEP_2)
	v_add3_u32 v35, v9, v35, v8
	v_add3_u32 v4, v10, v4, v2
	s_wait_alu 0xfffe
	s_cbranch_vccnz .LBB0_8
; %bb.7:                                ;   in Loop: Header=BB0_2 Depth=1
	v_dual_mov_b32 v8, v6 :: v_dual_mov_b32 v7, v5
	s_branch .LBB0_2
.LBB0_8:
	s_load_b64 s[0:1], s[0:1], 0x28
	v_mul_hi_u32 v2, 0x7878788, v0
	s_lshl_b64 s[6:7], s[6:7], 3
                                        ; implicit-def: $sgpr2_sgpr3
                                        ; implicit-def: $vgpr1
	s_wait_kmcnt 0x0
	v_cmp_gt_u64_e32 vcc_lo, s[0:1], v[5:6]
	v_cmp_le_u64_e64 s0, s[0:1], v[5:6]
	s_delay_alu instid0(VALU_DEP_1)
	s_and_saveexec_b32 s1, s0
	s_wait_alu 0xfffe
	s_xor_b32 s0, exec_lo, s1
; %bb.9:
	v_mul_u32_u24_e32 v1, 34, v2
	s_mov_b64 s[2:3], 0
                                        ; implicit-def: $vgpr2
                                        ; implicit-def: $vgpr34_vgpr35
	s_delay_alu instid0(VALU_DEP_1)
	v_sub_nc_u32_e32 v1, v0, v1
                                        ; implicit-def: $vgpr0
; %bb.10:
	s_wait_alu 0xfffe
	s_or_saveexec_b32 s1, s0
	v_dual_mov_b32 v33, s3 :: v_dual_mov_b32 v32, s2
	s_add_nc_u64 s[2:3], s[14:15], s[6:7]
                                        ; implicit-def: $vgpr42
                                        ; implicit-def: $vgpr36
                                        ; implicit-def: $vgpr29
                                        ; implicit-def: $vgpr25
                                        ; implicit-def: $vgpr20
                                        ; implicit-def: $vgpr16
                                        ; implicit-def: $vgpr12
                                        ; implicit-def: $vgpr8
                                        ; implicit-def: $vgpr14
                                        ; implicit-def: $vgpr22
                                        ; implicit-def: $vgpr31
                                        ; implicit-def: $vgpr40
                                        ; implicit-def: $vgpr38
                                        ; implicit-def: $vgpr27
                                        ; implicit-def: $vgpr18
                                        ; implicit-def: $vgpr10
                                        ; implicit-def: $vgpr43
	s_wait_alu 0xfffe
	s_xor_b32 exec_lo, exec_lo, s1
	s_cbranch_execz .LBB0_12
; %bb.11:
	s_add_nc_u64 s[6:7], s[12:13], s[6:7]
	s_load_b64 s[6:7], s[6:7], 0x0
	s_wait_kmcnt 0x0
	v_mul_lo_u32 v1, s7, v5
	v_mul_lo_u32 v9, s6, v6
	v_mad_co_u64_u32 v[7:8], null, s6, v5, 0
	s_delay_alu instid0(VALU_DEP_1) | instskip(SKIP_2) | instid1(VALU_DEP_3)
	v_add3_u32 v8, v8, v9, v1
	v_mul_u32_u24_e32 v1, 34, v2
	v_lshlrev_b64_e32 v[9:10], 3, v[34:35]
	v_lshlrev_b64_e32 v[7:8], 3, v[7:8]
	s_delay_alu instid0(VALU_DEP_3) | instskip(NEXT) | instid1(VALU_DEP_1)
	v_sub_nc_u32_e32 v1, v0, v1
	v_mov_b32_e32 v43, v1
	s_delay_alu instid0(VALU_DEP_3) | instskip(SKIP_1) | instid1(VALU_DEP_4)
	v_add_co_u32 v0, s0, s8, v7
	s_wait_alu 0xf1ff
	v_add_co_ci_u32_e64 v2, s0, s9, v8, s0
	v_lshlrev_b32_e32 v7, 3, v1
	s_delay_alu instid0(VALU_DEP_3) | instskip(SKIP_1) | instid1(VALU_DEP_3)
	v_add_co_u32 v0, s0, v0, v9
	s_wait_alu 0xf1ff
	v_add_co_ci_u32_e64 v2, s0, v2, v10, s0
	s_delay_alu instid0(VALU_DEP_2) | instskip(SKIP_1) | instid1(VALU_DEP_2)
	v_add_co_u32 v39, s0, v0, v7
	s_wait_alu 0xf1ff
	v_add_co_ci_u32_e64 v40, s0, 0, v2, s0
	s_clause 0x10
	global_load_b64 v[32:33], v[39:40], off
	global_load_b64 v[41:42], v[39:40], off offset:272
	global_load_b64 v[35:36], v[39:40], off offset:544
	global_load_b64 v[28:29], v[39:40], off offset:816
	global_load_b64 v[24:25], v[39:40], off offset:1088
	global_load_b64 v[19:20], v[39:40], off offset:1360
	global_load_b64 v[15:16], v[39:40], off offset:1632
	global_load_b64 v[11:12], v[39:40], off offset:1904
	global_load_b64 v[7:8], v[39:40], off offset:2176
	global_load_b64 v[9:10], v[39:40], off offset:2448
	global_load_b64 v[13:14], v[39:40], off offset:2720
	global_load_b64 v[17:18], v[39:40], off offset:2992
	global_load_b64 v[21:22], v[39:40], off offset:3264
	global_load_b64 v[26:27], v[39:40], off offset:3536
	global_load_b64 v[30:31], v[39:40], off offset:3808
	global_load_b64 v[37:38], v[39:40], off offset:4080
	global_load_b64 v[39:40], v[39:40], off offset:4352
.LBB0_12:
	s_or_b32 exec_lo, exec_lo, s1
	s_wait_loadcnt 0xf
	v_add_f32_e32 v2, v42, v33
	v_add_f32_e32 v0, v41, v32
	s_wait_loadcnt 0x0
	v_add_f32_e32 v44, v41, v39
	v_sub_f32_e32 v41, v41, v39
	v_mul_hi_u32 v34, 0x24924925, v23
	v_dual_add_f32 v2, v36, v2 :: v_dual_sub_f32 v45, v42, v40
	s_delay_alu instid0(VALU_DEP_3) | instskip(SKIP_1) | instid1(VALU_DEP_3)
	v_dual_sub_f32 v72, v36, v38 :: v_dual_mul_f32 v47, 0xbeb8f4ab, v41
	v_dual_add_f32 v0, v35, v0 :: v_dual_mul_f32 v49, 0xbf2c7751, v41
	v_mul_f32_e32 v46, 0xbeb8f4ab, v45
	s_delay_alu instid0(VALU_DEP_4) | instskip(NEXT) | instid1(VALU_DEP_3)
	v_dual_mul_f32 v51, 0xbf65296c, v41 :: v_dual_add_f32 v2, v29, v2
	v_dual_add_f32 v0, v28, v0 :: v_dual_mul_f32 v53, 0xbf7ee86f, v41
	v_mul_f32_e32 v48, 0xbf2c7751, v45
	v_add_f32_e32 v42, v42, v40
	v_mul_f32_e32 v50, 0xbf65296c, v45
	v_dual_fmamk_f32 v55, v44, 0x3f6eb680, v46 :: v_dual_add_f32 v2, v25, v2
	s_delay_alu instid0(VALU_DEP_4)
	v_fmamk_f32 v57, v44, 0x3f3d2fb0, v48
	v_add_f32_e32 v0, v24, v0
	v_fma_f32 v56, 0x3f6eb680, v42, -v47
	v_fmac_f32_e32 v47, 0x3f6eb680, v42
	v_fmamk_f32 v59, v44, 0x3ee437d1, v50
	v_add_f32_e32 v2, v20, v2
	v_add_f32_e32 v0, v19, v0
	v_fma_f32 v58, 0x3f3d2fb0, v42, -v49
	v_fmac_f32_e32 v49, 0x3f3d2fb0, v42
	s_delay_alu instid0(VALU_DEP_4) | instskip(NEXT) | instid1(VALU_DEP_4)
	v_dual_add_f32 v47, v47, v33 :: v_dual_add_f32 v2, v16, v2
	v_add_f32_e32 v0, v15, v0
	v_fma_f32 v60, 0x3ee437d1, v42, -v51
	v_fmac_f32_e32 v51, 0x3ee437d1, v42
	s_delay_alu instid0(VALU_DEP_4)
	v_dual_add_f32 v49, v49, v33 :: v_dual_add_f32 v2, v12, v2
	v_sub_nc_u32_e32 v54, v23, v34
	v_add_f32_e32 v0, v11, v0
	v_add_f32_e32 v57, v57, v32
	v_fma_f32 v48, 0x3f3d2fb0, v44, -v48
	v_add_f32_e32 v2, v8, v2
	v_lshrrev_b32_e32 v54, 1, v54
	v_add_f32_e32 v59, v59, v32
	v_fma_f32 v50, 0x3ee437d1, v44, -v50
	s_delay_alu instid0(VALU_DEP_4) | instskip(NEXT) | instid1(VALU_DEP_4)
	v_dual_add_f32 v55, v55, v32 :: v_dual_add_f32 v2, v10, v2
	v_add_nc_u32_e32 v34, v54, v34
	v_fma_f32 v46, 0x3f6eb680, v44, -v46
	v_add_f32_e32 v60, v60, v33
	v_mul_f32_e32 v62, 0xbf4c4adb, v45
	v_add_f32_e32 v2, v14, v2
	v_lshrrev_b32_e32 v34, 2, v34
	v_cmp_gt_u32_e64 s0, 17, v1
	s_load_b64 s[2:3], s[2:3], 0x0
	s_delay_alu instid0(VALU_DEP_3) | instskip(NEXT) | instid1(VALU_DEP_3)
	v_dual_mul_f32 v75, 0xbf2c7751, v72 :: v_dual_add_f32 v2, v18, v2
	v_mul_lo_u32 v34, v34, 7
	v_mul_f32_e32 v61, 0xbf763a35, v41
	v_mul_f32_e32 v65, 0xbf4c4adb, v41
	s_delay_alu instid0(VALU_DEP_4) | instskip(NEXT) | instid1(VALU_DEP_3)
	v_dual_mul_f32 v67, 0xbf06c442, v45 :: v_dual_add_f32 v2, v22, v2
	v_fma_f32 v63, 0xbe8c1d8e, v42, -v61
	v_fmac_f32_e32 v61, 0xbe8c1d8e, v42
	v_sub_nc_u32_e32 v23, v23, v34
	s_delay_alu instid0(VALU_DEP_4) | instskip(SKIP_3) | instid1(VALU_DEP_4)
	v_add_f32_e32 v2, v27, v2
	v_fma_f32 v66, 0xbf1a4643, v42, -v65
	v_add_f32_e32 v63, v63, v33
	v_add_f32_e32 v74, v35, v37
	v_dual_add_f32 v61, v61, v33 :: v_dual_add_f32 v2, v31, v2
	v_fmac_f32_e32 v65, 0xbf1a4643, v42
	v_fmamk_f32 v69, v44, 0xbf59a7d5, v67
	v_fma_f32 v67, 0xbf59a7d5, v44, -v67
	v_add_f32_e32 v56, v56, v33
	v_add_f32_e32 v34, v38, v2
	v_mul_f32_e32 v52, 0xbf7ee86f, v45
	v_mul_u32_u24_e32 v2, 0x242, v23
	v_dual_add_f32 v58, v58, v33 :: v_dual_add_f32 v67, v67, v32
	s_delay_alu instid0(VALU_DEP_4)
	v_add_f32_e32 v23, v40, v34
	v_fma_f32 v40, 0x3dbcf732, v42, -v53
	v_dual_fmac_f32 v53, 0x3dbcf732, v42 :: v_dual_add_f32 v0, v7, v0
	v_dual_fmamk_f32 v54, v44, 0x3dbcf732, v52 :: v_dual_add_f32 v65, v65, v33
	v_fma_f32 v52, 0x3dbcf732, v44, -v52
	v_add_f32_e32 v34, v50, v32
	s_delay_alu instid0(VALU_DEP_4) | instskip(SKIP_1) | instid1(VALU_DEP_4)
	v_add_f32_e32 v0, v9, v0
	v_dual_add_f32 v69, v69, v32 :: v_dual_add_f32 v40, v40, v33
	v_add_f32_e32 v52, v52, v32
	v_mul_f32_e32 v68, 0xbf06c442, v41
	s_delay_alu instid0(VALU_DEP_4) | instskip(SKIP_1) | instid1(VALU_DEP_2)
	v_dual_add_f32 v0, v13, v0 :: v_dual_mul_f32 v41, 0xbe3c28d5, v41
	v_dual_add_f32 v48, v48, v32 :: v_dual_add_f32 v53, v53, v33
	v_dual_sub_f32 v35, v35, v37 :: v_dual_add_f32 v0, v17, v0
	s_delay_alu instid0(VALU_DEP_3) | instskip(SKIP_2) | instid1(VALU_DEP_4)
	v_fma_f32 v73, 0xbf7ba420, v42, -v41
	v_fmac_f32_e32 v41, 0xbf7ba420, v42
	v_mul_f32_e32 v50, 0xbf763a35, v45
	v_dual_mul_f32 v45, 0xbe3c28d5, v45 :: v_dual_add_f32 v0, v21, v0
	v_add_f32_e32 v36, v36, v38
	v_fmamk_f32 v38, v74, 0x3f3d2fb0, v75
	s_delay_alu instid0(VALU_DEP_3) | instskip(NEXT) | instid1(VALU_DEP_4)
	v_dual_add_f32 v46, v46, v32 :: v_dual_fmamk_f32 v71, v44, 0xbf7ba420, v45
	v_add_f32_e32 v0, v26, v0
	v_fma_f32 v70, 0xbf59a7d5, v42, -v68
	s_delay_alu instid0(VALU_DEP_3) | instskip(NEXT) | instid1(VALU_DEP_3)
	v_dual_fmac_f32 v68, 0xbf59a7d5, v42 :: v_dual_add_f32 v71, v71, v32
	v_add_f32_e32 v0, v30, v0
	s_delay_alu instid0(VALU_DEP_3) | instskip(NEXT) | instid1(VALU_DEP_3)
	v_add_f32_e32 v70, v70, v33
	v_add_f32_e32 v68, v68, v33
	s_delay_alu instid0(VALU_DEP_3) | instskip(SKIP_2) | instid1(VALU_DEP_3)
	v_add_f32_e32 v0, v37, v0
	v_fma_f32 v37, 0xbf7ba420, v44, -v45
	v_fma_f32 v45, 0x3f3d2fb0, v74, -v75
	v_add_f32_e32 v0, v39, v0
	v_add_f32_e32 v39, v51, v33
	v_dual_add_f32 v51, v54, v32 :: v_dual_fmamk_f32 v54, v44, 0xbe8c1d8e, v50
	v_fma_f32 v50, 0xbe8c1d8e, v44, -v50
	v_fmamk_f32 v64, v44, 0xbf1a4643, v62
	v_fma_f32 v62, 0xbf1a4643, v44, -v62
	s_delay_alu instid0(VALU_DEP_4) | instskip(NEXT) | instid1(VALU_DEP_4)
	v_dual_add_f32 v45, v45, v46 :: v_dual_add_f32 v54, v54, v32
	v_add_f32_e32 v50, v50, v32
	s_delay_alu instid0(VALU_DEP_4) | instskip(NEXT) | instid1(VALU_DEP_4)
	v_add_f32_e32 v64, v64, v32
	v_add_f32_e32 v62, v62, v32
	v_dual_add_f32 v32, v37, v32 :: v_dual_add_f32 v37, v38, v55
	v_dual_mul_f32 v55, 0xbf7ee86f, v35 :: v_dual_add_f32 v66, v66, v33
	v_add_f32_e32 v44, v73, v33
	v_add_f32_e32 v33, v41, v33
	v_mul_f32_e32 v41, 0xbf7ee86f, v72
	s_delay_alu instid0(VALU_DEP_4) | instskip(SKIP_3) | instid1(VALU_DEP_2)
	v_fma_f32 v46, 0x3dbcf732, v36, -v55
	v_fmac_f32_e32 v55, 0x3dbcf732, v36
	v_mul_f32_e32 v42, 0xbf2c7751, v35
	v_mul_f32_e32 v73, 0xbe3c28d5, v35
	v_fma_f32 v38, 0x3f3d2fb0, v36, -v42
	v_fmac_f32_e32 v42, 0x3f3d2fb0, v36
	s_delay_alu instid0(VALU_DEP_2) | instskip(SKIP_1) | instid1(VALU_DEP_3)
	v_add_f32_e32 v38, v38, v56
	v_fmamk_f32 v56, v74, 0x3dbcf732, v41
	v_dual_add_f32 v42, v42, v47 :: v_dual_mul_f32 v47, 0xbf4c4adb, v72
	v_fma_f32 v41, 0x3dbcf732, v74, -v41
	s_delay_alu instid0(VALU_DEP_2) | instskip(NEXT) | instid1(VALU_DEP_2)
	v_dual_add_f32 v56, v56, v57 :: v_dual_fmamk_f32 v57, v74, 0xbf1a4643, v47
	v_dual_add_f32 v41, v41, v48 :: v_dual_add_f32 v48, v55, v49
	v_mul_f32_e32 v49, 0xbe3c28d5, v72
	v_fma_f32 v47, 0xbf1a4643, v74, -v47
	s_delay_alu instid0(VALU_DEP_4) | instskip(NEXT) | instid1(VALU_DEP_2)
	v_add_f32_e32 v55, v57, v59
	v_dual_fmamk_f32 v59, v74, 0xbf7ba420, v49 :: v_dual_add_f32 v34, v47, v34
	v_fma_f32 v49, 0xbf7ba420, v74, -v49
	s_delay_alu instid0(VALU_DEP_2) | instskip(SKIP_4) | instid1(VALU_DEP_4)
	v_add_f32_e32 v47, v59, v51
	v_fma_f32 v51, 0xbf7ba420, v36, -v73
	v_fmac_f32_e32 v73, 0xbf7ba420, v36
	v_mul_f32_e32 v59, 0x3f06c442, v35
	v_add_f32_e32 v49, v49, v52
	v_add_f32_e32 v40, v51, v40
	s_delay_alu instid0(VALU_DEP_4) | instskip(NEXT) | instid1(VALU_DEP_4)
	v_add_f32_e32 v52, v73, v53
	v_fma_f32 v53, 0xbf59a7d5, v36, -v59
	v_mul_f32_e32 v73, 0x3f65296c, v35
	s_delay_alu instid0(VALU_DEP_2) | instskip(SKIP_4) | instid1(VALU_DEP_3)
	v_add_f32_e32 v53, v53, v63
	v_dual_mul_f32 v63, 0x3f763a35, v35 :: v_dual_add_f32 v46, v46, v58
	v_mul_f32_e32 v58, 0xbf4c4adb, v35
	v_fmac_f32_e32 v59, 0xbf59a7d5, v36
	v_mul_f32_e32 v35, 0x3eb8f4ab, v35
	v_fma_f32 v57, 0xbf1a4643, v36, -v58
	v_fmac_f32_e32 v58, 0xbf1a4643, v36
	s_delay_alu instid0(VALU_DEP_2) | instskip(NEXT) | instid1(VALU_DEP_2)
	v_add_f32_e32 v57, v57, v60
	v_dual_add_f32 v39, v58, v39 :: v_dual_mul_f32 v58, 0x3f06c442, v72
	s_delay_alu instid0(VALU_DEP_1) | instskip(NEXT) | instid1(VALU_DEP_1)
	v_fmamk_f32 v51, v74, 0xbf59a7d5, v58
	v_add_f32_e32 v51, v51, v54
	v_fma_f32 v54, 0xbf59a7d5, v74, -v58
	s_delay_alu instid0(VALU_DEP_1)
	v_add_f32_e32 v50, v54, v50
	v_add_f32_e32 v54, v59, v61
	v_fma_f32 v61, 0xbe8c1d8e, v36, -v63
	v_fmac_f32_e32 v63, 0xbe8c1d8e, v36
	v_mul_f32_e32 v60, 0x3f763a35, v72
	v_mul_f32_e32 v59, 0x3f65296c, v72
	s_delay_alu instid0(VALU_DEP_2) | instskip(SKIP_1) | instid1(VALU_DEP_2)
	v_dual_add_f32 v61, v61, v66 :: v_dual_fmamk_f32 v58, v74, 0xbe8c1d8e, v60
	v_fma_f32 v60, 0xbe8c1d8e, v74, -v60
	v_add_f32_e32 v58, v58, v64
	s_delay_alu instid0(VALU_DEP_4) | instskip(NEXT) | instid1(VALU_DEP_3)
	v_fmamk_f32 v64, v74, 0x3ee437d1, v59
	v_add_f32_e32 v60, v60, v62
	v_add_f32_e32 v62, v63, v65
	v_fma_f32 v59, 0x3ee437d1, v74, -v59
	v_mul_f32_e32 v65, 0x3eb8f4ab, v72
	v_add_f32_e32 v63, v64, v69
	v_fma_f32 v64, 0x3ee437d1, v36, -v73
	v_fmac_f32_e32 v73, 0x3ee437d1, v36
	v_fma_f32 v69, 0x3f6eb680, v36, -v35
	v_dual_add_f32 v59, v59, v67 :: v_dual_fmamk_f32 v66, v74, 0x3f6eb680, v65
	v_fma_f32 v65, 0x3f6eb680, v74, -v65
	s_delay_alu instid0(VALU_DEP_4) | instskip(NEXT) | instid1(VALU_DEP_4)
	v_add_f32_e32 v67, v73, v68
	v_dual_add_f32 v44, v69, v44 :: v_dual_add_f32 v69, v28, v30
	v_sub_f32_e32 v28, v28, v30
	v_dual_sub_f32 v68, v29, v31 :: v_dual_fmac_f32 v35, 0x3f6eb680, v36
	v_add_f32_e32 v29, v29, v31
	v_add_f32_e32 v32, v65, v32
	s_delay_alu instid0(VALU_DEP_4) | instskip(NEXT) | instid1(VALU_DEP_4)
	v_mul_f32_e32 v31, 0xbf65296c, v28
	v_dual_mul_f32 v30, 0xbf65296c, v68 :: v_dual_add_f32 v33, v35, v33
	v_mul_f32_e32 v35, 0xbf4c4adb, v68
	s_delay_alu instid0(VALU_DEP_3) | instskip(NEXT) | instid1(VALU_DEP_3)
	v_fma_f32 v65, 0x3ee437d1, v29, -v31
	v_fmamk_f32 v36, v69, 0x3ee437d1, v30
	v_fma_f32 v30, 0x3ee437d1, v69, -v30
	s_delay_alu instid0(VALU_DEP_3) | instskip(NEXT) | instid1(VALU_DEP_3)
	v_dual_fmac_f32 v31, 0x3ee437d1, v29 :: v_dual_add_f32 v38, v65, v38
	v_dual_add_f32 v36, v36, v37 :: v_dual_fmamk_f32 v37, v69, 0xbf1a4643, v35
	s_delay_alu instid0(VALU_DEP_3) | instskip(NEXT) | instid1(VALU_DEP_3)
	v_dual_mul_f32 v65, 0xbf4c4adb, v28 :: v_dual_add_f32 v30, v30, v45
	v_add_f32_e32 v31, v31, v42
	v_fma_f32 v35, 0xbf1a4643, v69, -v35
	s_delay_alu instid0(VALU_DEP_4) | instskip(NEXT) | instid1(VALU_DEP_4)
	v_add_f32_e32 v37, v37, v56
	v_fma_f32 v45, 0xbf1a4643, v29, -v65
	v_mul_f32_e32 v56, 0x3e3c28d5, v28
	s_delay_alu instid0(VALU_DEP_4) | instskip(SKIP_1) | instid1(VALU_DEP_4)
	v_dual_add_f32 v64, v64, v70 :: v_dual_add_f32 v35, v35, v41
	v_fmac_f32_e32 v65, 0xbf1a4643, v29
	v_add_f32_e32 v45, v45, v46
	s_delay_alu instid0(VALU_DEP_4) | instskip(NEXT) | instid1(VALU_DEP_3)
	v_fma_f32 v46, 0xbf7ba420, v29, -v56
	v_dual_fmac_f32 v56, 0xbf7ba420, v29 :: v_dual_add_f32 v41, v65, v48
	s_delay_alu instid0(VALU_DEP_2) | instskip(NEXT) | instid1(VALU_DEP_2)
	v_dual_add_f32 v46, v46, v57 :: v_dual_mul_f32 v57, 0x3f763a35, v28
	v_dual_mul_f32 v42, 0x3e3c28d5, v68 :: v_dual_add_f32 v39, v56, v39
	v_add_f32_e32 v66, v66, v71
	s_delay_alu instid0(VALU_DEP_3) | instskip(NEXT) | instid1(VALU_DEP_3)
	v_fma_f32 v56, 0xbe8c1d8e, v29, -v57
	v_fmamk_f32 v70, v69, 0xbf7ba420, v42
	s_delay_alu instid0(VALU_DEP_2) | instskip(NEXT) | instid1(VALU_DEP_2)
	v_dual_fmac_f32 v57, 0xbe8c1d8e, v29 :: v_dual_add_f32 v40, v56, v40
	v_dual_add_f32 v48, v70, v55 :: v_dual_mul_f32 v55, 0x3f763a35, v68
	s_delay_alu instid0(VALU_DEP_2) | instskip(NEXT) | instid1(VALU_DEP_2)
	v_add_f32_e32 v52, v57, v52
	v_fmamk_f32 v65, v69, 0xbe8c1d8e, v55
	v_mul_f32_e32 v56, 0x3f2c7751, v28
	v_fma_f32 v55, 0xbe8c1d8e, v69, -v55
	s_delay_alu instid0(VALU_DEP_3) | instskip(NEXT) | instid1(VALU_DEP_3)
	v_add_f32_e32 v47, v65, v47
	v_fma_f32 v57, 0x3f3d2fb0, v29, -v56
	s_delay_alu instid0(VALU_DEP_3) | instskip(SKIP_2) | instid1(VALU_DEP_4)
	v_add_f32_e32 v49, v55, v49
	v_mul_f32_e32 v55, 0xbeb8f4ab, v68
	v_fmac_f32_e32 v56, 0x3f3d2fb0, v29
	v_add_f32_e32 v53, v57, v53
	v_fma_f32 v42, 0xbf7ba420, v69, -v42
	v_mul_f32_e32 v57, 0xbf7ee86f, v68
	v_fmamk_f32 v70, v69, 0x3f6eb680, v55
	v_fma_f32 v55, 0x3f6eb680, v69, -v55
	s_delay_alu instid0(VALU_DEP_4) | instskip(SKIP_1) | instid1(VALU_DEP_3)
	v_add_f32_e32 v34, v42, v34
	v_mul_f32_e32 v42, 0x3f2c7751, v68
	v_add_f32_e32 v55, v55, v60
	s_delay_alu instid0(VALU_DEP_2) | instskip(SKIP_1) | instid1(VALU_DEP_2)
	v_fmamk_f32 v65, v69, 0x3f3d2fb0, v42
	v_fma_f32 v42, 0x3f3d2fb0, v69, -v42
	v_add_f32_e32 v51, v65, v51
	s_delay_alu instid0(VALU_DEP_2) | instskip(SKIP_3) | instid1(VALU_DEP_4)
	v_dual_mul_f32 v65, 0xbeb8f4ab, v28 :: v_dual_add_f32 v42, v42, v50
	v_add_f32_e32 v50, v56, v54
	v_add_f32_e32 v56, v70, v58
	v_mul_f32_e32 v58, 0xbf7ee86f, v28
	v_fma_f32 v54, 0x3f6eb680, v29, -v65
	v_fmac_f32_e32 v65, 0x3f6eb680, v29
	s_delay_alu instid0(VALU_DEP_2) | instskip(NEXT) | instid1(VALU_DEP_2)
	v_dual_add_f32 v54, v54, v61 :: v_dual_fmamk_f32 v61, v69, 0x3dbcf732, v57
	v_add_f32_e32 v60, v65, v62
	v_mul_f32_e32 v62, 0xbf06c442, v68
	v_fma_f32 v57, 0x3dbcf732, v69, -v57
	v_fma_f32 v65, 0x3dbcf732, v29, -v58
	v_add_f32_e32 v61, v61, v63
	s_delay_alu instid0(VALU_DEP_4) | instskip(NEXT) | instid1(VALU_DEP_4)
	v_fmamk_f32 v63, v69, 0xbf59a7d5, v62
	v_add_f32_e32 v57, v57, v59
	v_fma_f32 v62, 0xbf59a7d5, v69, -v62
	s_delay_alu instid0(VALU_DEP_3) | instskip(SKIP_4) | instid1(VALU_DEP_4)
	v_add_f32_e32 v59, v63, v66
	v_dual_sub_f32 v63, v25, v27 :: v_dual_mul_f32 v28, 0xbf06c442, v28
	v_sub_f32_e32 v66, v24, v26
	v_add_f32_e32 v64, v65, v64
	v_dual_add_f32 v25, v25, v27 :: v_dual_add_f32 v24, v24, v26
	v_fma_f32 v65, 0xbf59a7d5, v29, -v28
	v_fmac_f32_e32 v28, 0xbf59a7d5, v29
	v_dual_mul_f32 v27, 0xbf7ee86f, v66 :: v_dual_add_f32 v32, v62, v32
	v_mul_f32_e32 v62, 0xbe3c28d5, v63
	v_mul_f32_e32 v26, 0xbf7ee86f, v63
	s_delay_alu instid0(VALU_DEP_4) | instskip(NEXT) | instid1(VALU_DEP_4)
	v_add_f32_e32 v28, v28, v33
	v_fma_f32 v33, 0x3dbcf732, v25, -v27
	v_fmac_f32_e32 v27, 0x3dbcf732, v25
	s_delay_alu instid0(VALU_DEP_2) | instskip(NEXT) | instid1(VALU_DEP_2)
	v_dual_add_f32 v33, v33, v38 :: v_dual_fmamk_f32 v38, v24, 0xbf7ba420, v62
	v_add_f32_e32 v27, v27, v31
	s_delay_alu instid0(VALU_DEP_2) | instskip(SKIP_4) | instid1(VALU_DEP_3)
	v_add_f32_e32 v31, v38, v37
	v_dual_fmac_f32 v58, 0x3dbcf732, v29 :: v_dual_add_f32 v29, v65, v44
	v_fmamk_f32 v44, v24, 0x3dbcf732, v26
	v_fma_f32 v26, 0x3dbcf732, v24, -v26
	v_fma_f32 v38, 0xbf7ba420, v24, -v62
	v_add_f32_e32 v36, v44, v36
	v_mul_f32_e32 v44, 0xbe3c28d5, v66
	s_delay_alu instid0(VALU_DEP_4) | instskip(SKIP_2) | instid1(VALU_DEP_4)
	v_add_f32_e32 v26, v26, v30
	v_mul_f32_e32 v30, 0x3f763a35, v63
	v_add_f32_e32 v35, v38, v35
	v_fma_f32 v37, 0xbf7ba420, v25, -v44
	v_fmac_f32_e32 v44, 0xbf7ba420, v25
	s_delay_alu instid0(VALU_DEP_4) | instskip(SKIP_1) | instid1(VALU_DEP_4)
	v_fmamk_f32 v62, v24, 0xbe8c1d8e, v30
	v_fma_f32 v30, 0xbe8c1d8e, v24, -v30
	v_add_f32_e32 v37, v37, v45
	v_mul_f32_e32 v45, 0x3eb8f4ab, v63
	v_dual_mul_f32 v65, 0x3f763a35, v66 :: v_dual_add_f32 v38, v44, v41
	v_add_f32_e32 v41, v62, v48
	v_add_f32_e32 v58, v58, v67
	v_mul_f32_e32 v48, 0x3eb8f4ab, v66
	s_delay_alu instid0(VALU_DEP_4) | instskip(SKIP_2) | instid1(VALU_DEP_2)
	v_fma_f32 v44, 0xbe8c1d8e, v25, -v65
	v_dual_fmac_f32 v65, 0xbe8c1d8e, v25 :: v_dual_add_f32 v30, v30, v34
	v_mul_f32_e32 v62, 0xbf65296c, v63
	v_add_f32_e32 v34, v65, v39
	v_fma_f32 v39, 0x3f6eb680, v25, -v48
	v_mul_f32_e32 v65, 0xbf06c442, v66
	v_add_f32_e32 v44, v44, v46
	s_delay_alu instid0(VALU_DEP_3) | instskip(SKIP_3) | instid1(VALU_DEP_4)
	v_dual_fmac_f32 v48, 0x3f6eb680, v25 :: v_dual_add_f32 v39, v39, v40
	v_fmamk_f32 v46, v24, 0x3f6eb680, v45
	v_fma_f32 v45, 0x3f6eb680, v24, -v45
	v_fmamk_f32 v40, v24, 0x3ee437d1, v62
	v_add_f32_e32 v48, v48, v52
	v_fma_f32 v52, 0x3ee437d1, v24, -v62
	v_dual_add_f32 v46, v46, v47 :: v_dual_mul_f32 v47, 0xbf65296c, v66
	v_add_f32_e32 v45, v45, v49
	v_mul_f32_e32 v49, 0xbf06c442, v63
	v_add_f32_e32 v40, v40, v51
	v_add_f32_e32 v42, v52, v42
	v_fma_f32 v51, 0x3ee437d1, v25, -v47
	v_fmac_f32_e32 v47, 0x3ee437d1, v25
	v_fmamk_f32 v62, v24, 0xbf59a7d5, v49
	v_fma_f32 v52, 0xbf59a7d5, v25, -v65
	v_fma_f32 v49, 0xbf59a7d5, v24, -v49
	v_add_f32_e32 v51, v51, v53
	v_mul_f32_e32 v53, 0x3f4c4adb, v63
	v_dual_add_f32 v47, v47, v50 :: v_dual_add_f32 v50, v62, v56
	v_fmac_f32_e32 v65, 0xbf59a7d5, v25
	v_mul_f32_e32 v56, 0x3f4c4adb, v66
	v_add_f32_e32 v52, v52, v54
	v_fmamk_f32 v54, v24, 0xbf1a4643, v53
	v_mul_f32_e32 v62, 0x3f2c7751, v63
	v_add_f32_e32 v49, v49, v55
	v_fma_f32 v55, 0xbf1a4643, v25, -v56
	v_fmac_f32_e32 v56, 0xbf1a4643, v25
	s_delay_alu instid0(VALU_DEP_4) | instskip(SKIP_2) | instid1(VALU_DEP_4)
	v_dual_add_f32 v54, v54, v61 :: v_dual_fmamk_f32 v61, v24, 0x3f3d2fb0, v62
	v_fma_f32 v53, 0xbf1a4643, v24, -v53
	v_mul_f32_e32 v63, 0x3f2c7751, v66
	v_dual_add_f32 v56, v56, v58 :: v_dual_add_f32 v55, v55, v64
	s_delay_alu instid0(VALU_DEP_4)
	v_dual_add_f32 v58, v61, v59 :: v_dual_add_f32 v61, v19, v21
	v_sub_f32_e32 v19, v19, v21
	v_add_f32_e32 v53, v53, v57
	v_sub_f32_e32 v57, v20, v22
	v_fma_f32 v59, 0x3f3d2fb0, v25, -v63
	v_fma_f32 v21, 0x3f3d2fb0, v24, -v62
	v_add_f32_e32 v20, v20, v22
	v_mul_f32_e32 v24, 0xbf763a35, v19
	v_fmac_f32_e32 v63, 0x3f3d2fb0, v25
	v_add_f32_e32 v25, v59, v29
	v_dual_add_f32 v21, v21, v32 :: v_dual_mul_f32 v32, 0x3f06c442, v57
	s_delay_alu instid0(VALU_DEP_4)
	v_fma_f32 v29, 0xbe8c1d8e, v20, -v24
	v_fmac_f32_e32 v24, 0xbe8c1d8e, v20
	v_mul_f32_e32 v59, 0x3f06c442, v19
	v_mul_f32_e32 v62, 0xbf65296c, v19
	v_add_f32_e32 v60, v65, v60
	v_add_f32_e32 v29, v29, v33
	v_dual_fmamk_f32 v33, v61, 0xbf59a7d5, v32 :: v_dual_add_f32 v24, v24, v27
	v_fma_f32 v27, 0xbf59a7d5, v20, -v59
	v_fma_f32 v32, 0xbf59a7d5, v61, -v32
	v_fmac_f32_e32 v59, 0xbf59a7d5, v20
	s_delay_alu instid0(VALU_DEP_4) | instskip(NEXT) | instid1(VALU_DEP_3)
	v_add_f32_e32 v31, v33, v31
	v_dual_add_f32 v27, v27, v37 :: v_dual_add_f32 v32, v32, v35
	s_delay_alu instid0(VALU_DEP_3) | instskip(SKIP_1) | instid1(VALU_DEP_2)
	v_dual_add_f32 v35, v59, v38 :: v_dual_mul_f32 v38, 0xbf65296c, v57
	v_mul_f32_e32 v37, 0x3f2c7751, v19
	v_fmamk_f32 v59, v61, 0x3ee437d1, v38
	v_mul_f32_e32 v64, 0xbf763a35, v57
	v_fma_f32 v38, 0x3ee437d1, v61, -v38
	s_delay_alu instid0(VALU_DEP_2) | instskip(NEXT) | instid1(VALU_DEP_2)
	v_fmamk_f32 v22, v61, 0xbe8c1d8e, v64
	v_add_f32_e32 v38, v38, v45
	s_delay_alu instid0(VALU_DEP_2) | instskip(SKIP_1) | instid1(VALU_DEP_1)
	v_add_f32_e32 v22, v22, v36
	v_fma_f32 v36, 0xbe8c1d8e, v61, -v64
	v_add_f32_e32 v26, v36, v26
	v_mul_f32_e32 v36, 0x3f2c7751, v57
	s_delay_alu instid0(VALU_DEP_1) | instskip(SKIP_1) | instid1(VALU_DEP_2)
	v_fmamk_f32 v33, v61, 0x3f3d2fb0, v36
	v_fma_f32 v36, 0x3f3d2fb0, v61, -v36
	v_add_f32_e32 v33, v33, v41
	v_fma_f32 v41, 0x3f3d2fb0, v20, -v37
	s_delay_alu instid0(VALU_DEP_3) | instskip(SKIP_1) | instid1(VALU_DEP_3)
	v_dual_fmac_f32 v37, 0x3f3d2fb0, v20 :: v_dual_add_f32 v30, v36, v30
	v_add_f32_e32 v36, v59, v46
	v_dual_mul_f32 v46, 0xbe3c28d5, v19 :: v_dual_add_f32 v41, v41, v44
	s_delay_alu instid0(VALU_DEP_3) | instskip(SKIP_4) | instid1(VALU_DEP_4)
	v_add_f32_e32 v34, v37, v34
	v_fma_f32 v37, 0x3ee437d1, v20, -v62
	v_mul_f32_e32 v44, 0xbe3c28d5, v57
	v_fmac_f32_e32 v62, 0x3ee437d1, v20
	v_mul_f32_e32 v59, 0x3f7ee86f, v57
	v_add_f32_e32 v37, v37, v39
	s_delay_alu instid0(VALU_DEP_4) | instskip(NEXT) | instid1(VALU_DEP_4)
	v_fmamk_f32 v39, v61, 0xbf7ba420, v44
	v_add_f32_e32 v45, v62, v48
	v_fma_f32 v48, 0xbf7ba420, v20, -v46
	s_delay_alu instid0(VALU_DEP_3) | instskip(SKIP_1) | instid1(VALU_DEP_3)
	v_add_f32_e32 v39, v39, v40
	v_fma_f32 v40, 0xbf7ba420, v61, -v44
	v_add_f32_e32 v44, v48, v51
	v_mul_f32_e32 v51, 0x3f7ee86f, v19
	v_fmac_f32_e32 v46, 0xbf7ba420, v20
	v_fmamk_f32 v48, v61, 0x3dbcf732, v59
	v_add_f32_e32 v40, v40, v42
	s_delay_alu instid0(VALU_DEP_3) | instskip(SKIP_1) | instid1(VALU_DEP_4)
	v_add_f32_e32 v42, v46, v47
	v_mul_f32_e32 v46, 0xbeb8f4ab, v57
	v_dual_add_f32 v28, v63, v28 :: v_dual_add_f32 v47, v48, v50
	v_fma_f32 v48, 0x3dbcf732, v20, -v51
	v_fma_f32 v50, 0x3dbcf732, v61, -v59
	s_delay_alu instid0(VALU_DEP_4) | instskip(SKIP_4) | instid1(VALU_DEP_4)
	v_fmamk_f32 v59, v61, 0x3f6eb680, v46
	v_fmac_f32_e32 v51, 0x3dbcf732, v20
	v_mul_f32_e32 v62, 0xbeb8f4ab, v19
	v_mul_f32_e32 v19, 0xbf4c4adb, v19
	v_fma_f32 v46, 0x3f6eb680, v61, -v46
	v_dual_add_f32 v49, v50, v49 :: v_dual_add_f32 v50, v51, v60
	s_delay_alu instid0(VALU_DEP_2) | instskip(SKIP_3) | instid1(VALU_DEP_2)
	v_dual_add_f32 v51, v59, v54 :: v_dual_add_f32 v46, v46, v53
	v_mul_f32_e32 v54, 0xbf4c4adb, v57
	v_fma_f32 v57, 0xbf1a4643, v20, -v19
	v_fmac_f32_e32 v19, 0xbf1a4643, v20
	v_add_f32_e32 v25, v57, v25
	v_add_f32_e32 v57, v15, v17
	v_dual_sub_f32 v15, v15, v17 :: v_dual_add_f32 v48, v48, v52
	v_fma_f32 v52, 0x3f6eb680, v20, -v62
	v_fmac_f32_e32 v62, 0x3f6eb680, v20
	v_add_f32_e32 v19, v19, v28
	s_delay_alu instid0(VALU_DEP_2) | instskip(SKIP_3) | instid1(VALU_DEP_4)
	v_dual_add_f32 v53, v62, v56 :: v_dual_sub_f32 v56, v16, v18
	v_add_f32_e32 v16, v16, v18
	v_dual_add_f32 v52, v52, v55 :: v_dual_fmamk_f32 v55, v61, 0xbf1a4643, v54
	v_fma_f32 v54, 0xbf1a4643, v61, -v54
	v_dual_mul_f32 v17, 0xbf4c4adb, v56 :: v_dual_mul_f32 v18, 0xbf4c4adb, v15
	s_delay_alu instid0(VALU_DEP_3) | instskip(NEXT) | instid1(VALU_DEP_2)
	v_dual_mul_f32 v28, 0x3f763a35, v56 :: v_dual_add_f32 v55, v55, v58
	v_dual_add_f32 v21, v54, v21 :: v_dual_fmamk_f32 v20, v57, 0xbf1a4643, v17
	s_delay_alu instid0(VALU_DEP_3) | instskip(SKIP_2) | instid1(VALU_DEP_4)
	v_fma_f32 v54, 0xbf1a4643, v16, -v18
	v_fma_f32 v17, 0xbf1a4643, v57, -v17
	v_fmac_f32_e32 v18, 0xbf1a4643, v16
	v_add_f32_e32 v20, v20, v22
	s_delay_alu instid0(VALU_DEP_4) | instskip(NEXT) | instid1(VALU_DEP_4)
	v_dual_fmamk_f32 v22, v57, 0xbe8c1d8e, v28 :: v_dual_add_f32 v29, v54, v29
	v_dual_mul_f32 v54, 0x3f763a35, v15 :: v_dual_add_f32 v17, v17, v26
	v_fma_f32 v28, 0xbe8c1d8e, v57, -v28
	s_delay_alu instid0(VALU_DEP_3) | instskip(SKIP_1) | instid1(VALU_DEP_4)
	v_add_f32_e32 v22, v22, v31
	v_mul_f32_e32 v31, 0xbeb8f4ab, v15
	v_fma_f32 v26, 0xbe8c1d8e, v16, -v54
	v_add_f32_e32 v18, v18, v24
	v_mul_f32_e32 v24, 0xbeb8f4ab, v56
	v_fmac_f32_e32 v54, 0xbe8c1d8e, v16
	s_delay_alu instid0(VALU_DEP_4) | instskip(SKIP_1) | instid1(VALU_DEP_4)
	v_dual_add_f32 v26, v26, v27 :: v_dual_add_f32 v27, v28, v32
	v_fma_f32 v32, 0x3f6eb680, v16, -v31
	v_fmamk_f32 v58, v57, 0x3f6eb680, v24
	v_fma_f32 v24, 0x3f6eb680, v57, -v24
	v_dual_fmac_f32 v31, 0x3f6eb680, v16 :: v_dual_add_f32 v28, v54, v35
	s_delay_alu instid0(VALU_DEP_4) | instskip(NEXT) | instid1(VALU_DEP_3)
	v_dual_add_f32 v32, v32, v41 :: v_dual_mul_f32 v41, 0xbf06c442, v15
	v_dual_mul_f32 v35, 0xbf06c442, v56 :: v_dual_add_f32 v24, v24, v30
	s_delay_alu instid0(VALU_DEP_3) | instskip(NEXT) | instid1(VALU_DEP_3)
	v_dual_add_f32 v30, v31, v34 :: v_dual_add_f32 v33, v58, v33
	v_fma_f32 v34, 0xbf59a7d5, v16, -v41
	s_delay_alu instid0(VALU_DEP_3) | instskip(SKIP_1) | instid1(VALU_DEP_3)
	v_fmamk_f32 v54, v57, 0xbf59a7d5, v35
	v_fma_f32 v35, 0xbf59a7d5, v57, -v35
	v_dual_fmac_f32 v41, 0xbf59a7d5, v16 :: v_dual_add_f32 v34, v34, v37
	v_mul_f32_e32 v37, 0x3f7ee86f, v15
	s_delay_alu instid0(VALU_DEP_2) | instskip(SKIP_1) | instid1(VALU_DEP_3)
	v_dual_add_f32 v35, v35, v38 :: v_dual_add_f32 v38, v41, v45
	v_add_f32_e32 v36, v54, v36
	v_fma_f32 v45, 0x3dbcf732, v16, -v37
	v_fmac_f32_e32 v37, 0x3dbcf732, v16
	v_mul_f32_e32 v41, 0xbf2c7751, v56
	v_mul_f32_e32 v31, 0x3f7ee86f, v56
	s_delay_alu instid0(VALU_DEP_4) | instskip(NEXT) | instid1(VALU_DEP_4)
	v_add_f32_e32 v44, v45, v44
	v_add_f32_e32 v37, v37, v42
	s_delay_alu instid0(VALU_DEP_4) | instskip(SKIP_2) | instid1(VALU_DEP_3)
	v_fmamk_f32 v58, v57, 0x3f3d2fb0, v41
	v_mul_f32_e32 v45, 0xbe3c28d5, v56
	v_fma_f32 v41, 0x3f3d2fb0, v57, -v41
	v_add_f32_e32 v42, v58, v47
	v_fmamk_f32 v54, v57, 0x3dbcf732, v31
	v_fma_f32 v31, 0x3dbcf732, v57, -v31
	v_mul_f32_e32 v47, 0xbe3c28d5, v15
	v_add_f32_e32 v41, v41, v49
	s_delay_alu instid0(VALU_DEP_4) | instskip(NEXT) | instid1(VALU_DEP_4)
	v_add_f32_e32 v39, v54, v39
	v_dual_mul_f32 v54, 0xbf2c7751, v15 :: v_dual_add_f32 v31, v31, v40
	v_mul_f32_e32 v15, 0x3f65296c, v15
	s_delay_alu instid0(VALU_DEP_2) | instskip(SKIP_1) | instid1(VALU_DEP_2)
	v_fma_f32 v40, 0x3f3d2fb0, v16, -v54
	v_fmac_f32_e32 v54, 0x3f3d2fb0, v16
	v_add_f32_e32 v40, v40, v48
	s_delay_alu instid0(VALU_DEP_2) | instskip(SKIP_4) | instid1(VALU_DEP_3)
	v_dual_fmamk_f32 v48, v57, 0xbf7ba420, v45 :: v_dual_add_f32 v49, v54, v50
	v_mul_f32_e32 v50, 0x3f65296c, v56
	v_fma_f32 v54, 0xbf7ba420, v16, -v47
	v_fma_f32 v45, 0xbf7ba420, v57, -v45
	v_fmac_f32_e32 v47, 0xbf7ba420, v16
	v_add_f32_e32 v52, v54, v52
	v_sub_f32_e32 v54, v11, v13
	v_dual_add_f32 v48, v48, v51 :: v_dual_fmamk_f32 v51, v57, 0x3ee437d1, v50
	s_delay_alu instid0(VALU_DEP_4) | instskip(SKIP_2) | instid1(VALU_DEP_4)
	v_dual_add_f32 v45, v45, v46 :: v_dual_add_f32 v46, v47, v53
	v_fma_f32 v53, 0x3ee437d1, v16, -v15
	v_fma_f32 v50, 0x3ee437d1, v57, -v50
	v_add_f32_e32 v47, v51, v55
	v_sub_f32_e32 v51, v12, v14
	v_add_f32_e32 v11, v11, v13
	v_dual_fmac_f32 v15, 0x3ee437d1, v16 :: v_dual_add_f32 v12, v12, v14
	s_delay_alu instid0(VALU_DEP_3) | instskip(SKIP_2) | instid1(VALU_DEP_4)
	v_dual_mul_f32 v14, 0xbf06c442, v54 :: v_dual_mul_f32 v13, 0xbf06c442, v51
	v_add_f32_e32 v16, v53, v25
	v_add_f32_e32 v21, v50, v21
	;; [unrolled: 1-line block ×3, first 2 shown]
	s_delay_alu instid0(VALU_DEP_4) | instskip(SKIP_4) | instid1(VALU_DEP_4)
	v_fma_f32 v19, 0xbf59a7d5, v12, -v14
	v_fmamk_f32 v25, v11, 0xbf59a7d5, v13
	v_mul_f32_e32 v50, 0x3f65296c, v51
	v_fmac_f32_e32 v14, 0xbf59a7d5, v12
	v_fma_f32 v13, 0xbf59a7d5, v11, -v13
	v_dual_add_f32 v19, v19, v29 :: v_dual_add_f32 v20, v25, v20
	s_delay_alu instid0(VALU_DEP_4)
	v_fmamk_f32 v25, v11, 0x3ee437d1, v50
	v_mul_f32_e32 v29, 0x3f65296c, v54
	v_add_f32_e32 v14, v14, v18
	v_mul_f32_e32 v53, 0xbf7ee86f, v54
	v_add_f32_e32 v13, v13, v17
	v_add_f32_e32 v18, v25, v22
	v_fma_f32 v22, 0x3ee437d1, v12, -v29
	v_fmac_f32_e32 v29, 0x3ee437d1, v12
	v_mul_f32_e32 v17, 0xbf7ee86f, v51
	v_fma_f32 v25, 0x3ee437d1, v11, -v50
	s_delay_alu instid0(VALU_DEP_4) | instskip(NEXT) | instid1(VALU_DEP_4)
	v_add_f32_e32 v22, v22, v26
	v_add_f32_e32 v26, v29, v28
	v_fma_f32 v28, 0x3dbcf732, v12, -v53
	v_mul_f32_e32 v29, 0x3f4c4adb, v51
	v_dual_fmamk_f32 v50, v11, 0x3dbcf732, v17 :: v_dual_add_f32 v25, v25, v27
	v_fma_f32 v17, 0x3dbcf732, v11, -v17
	s_delay_alu instid0(VALU_DEP_4) | instskip(NEXT) | instid1(VALU_DEP_4)
	v_add_f32_e32 v28, v28, v32
	v_fmamk_f32 v32, v11, 0xbf1a4643, v29
	v_fma_f32 v29, 0xbf1a4643, v11, -v29
	v_add_f32_e32 v27, v50, v33
	v_fmac_f32_e32 v53, 0x3dbcf732, v12
	v_dual_add_f32 v17, v17, v24 :: v_dual_mul_f32 v50, 0xbeb8f4ab, v51
	s_delay_alu instid0(VALU_DEP_4)
	v_add_f32_e32 v29, v29, v35
	v_mul_f32_e32 v35, 0xbe3c28d5, v51
	v_mul_f32_e32 v33, 0x3f4c4adb, v54
	v_add_f32_e32 v24, v53, v30
	v_dual_mul_f32 v53, 0xbe3c28d5, v54 :: v_dual_add_f32 v32, v32, v36
	v_mul_f32_e32 v36, 0xbeb8f4ab, v54
	s_delay_alu instid0(VALU_DEP_4) | instskip(NEXT) | instid1(VALU_DEP_1)
	v_fma_f32 v30, 0xbf1a4643, v12, -v33
	v_add_f32_e32 v30, v30, v34
	v_fmamk_f32 v34, v11, 0x3f6eb680, v50
	s_delay_alu instid0(VALU_DEP_1) | instskip(SKIP_3) | instid1(VALU_DEP_3)
	v_add_f32_e32 v34, v34, v39
	v_fma_f32 v39, 0x3f6eb680, v11, -v50
	v_fmamk_f32 v50, v11, 0xbf7ba420, v35
	v_fma_f32 v35, 0xbf7ba420, v11, -v35
	v_add_f32_e32 v31, v39, v31
	v_fma_f32 v39, 0xbf7ba420, v12, -v53
	v_fmac_f32_e32 v53, 0xbf7ba420, v12
	s_delay_alu instid0(VALU_DEP_4) | instskip(NEXT) | instid1(VALU_DEP_3)
	v_add_f32_e32 v35, v35, v41
	v_add_f32_e32 v39, v39, v40
	s_delay_alu instid0(VALU_DEP_3) | instskip(SKIP_1) | instid1(VALU_DEP_1)
	v_add_f32_e32 v41, v53, v49
	v_fmac_f32_e32 v33, 0xbf1a4643, v12
	v_add_f32_e32 v33, v33, v38
	v_fma_f32 v38, 0x3f6eb680, v12, -v36
	v_fmac_f32_e32 v36, 0x3f6eb680, v12
	s_delay_alu instid0(VALU_DEP_2) | instskip(NEXT) | instid1(VALU_DEP_2)
	v_add_f32_e32 v38, v38, v44
	v_dual_add_f32 v36, v36, v37 :: v_dual_add_f32 v37, v50, v42
	v_mul_f32_e32 v42, 0x3f2c7751, v51
	v_mul_f32_e32 v44, 0x3f2c7751, v54
	v_dual_mul_f32 v50, 0xbf763a35, v51 :: v_dual_mul_f32 v51, 0xbf763a35, v54
	s_delay_alu instid0(VALU_DEP_3) | instskip(NEXT) | instid1(VALU_DEP_3)
	v_fmamk_f32 v40, v11, 0x3f3d2fb0, v42
	v_fma_f32 v49, 0x3f3d2fb0, v12, -v44
	v_fma_f32 v42, 0x3f3d2fb0, v11, -v42
	v_fmac_f32_e32 v44, 0x3f3d2fb0, v12
	s_delay_alu instid0(VALU_DEP_4) | instskip(NEXT) | instid1(VALU_DEP_4)
	v_add_f32_e32 v40, v40, v48
	v_dual_add_f32 v48, v49, v52 :: v_dual_fmamk_f32 v49, v11, 0xbe8c1d8e, v50
	s_delay_alu instid0(VALU_DEP_3) | instskip(SKIP_1) | instid1(VALU_DEP_3)
	v_add_f32_e32 v44, v44, v46
	v_fma_f32 v11, 0xbe8c1d8e, v11, -v50
	v_dual_add_f32 v46, v49, v47 :: v_dual_add_f32 v49, v7, v9
	v_dual_add_f32 v42, v42, v45 :: v_dual_sub_f32 v45, v8, v10
	v_sub_f32_e32 v7, v7, v9
	v_fma_f32 v47, 0xbe8c1d8e, v12, -v51
	v_dual_fmac_f32 v51, 0xbe8c1d8e, v12 :: v_dual_add_f32 v10, v8, v10
	s_delay_alu instid0(VALU_DEP_3) | instskip(SKIP_1) | instid1(VALU_DEP_3)
	v_dual_mul_f32 v9, 0xbe3c28d5, v45 :: v_dual_mul_f32 v8, 0xbe3c28d5, v7
	v_add_f32_e32 v11, v11, v21
	v_add_f32_e32 v15, v51, v15
	;; [unrolled: 1-line block ×3, first 2 shown]
	s_delay_alu instid0(VALU_DEP_4) | instskip(SKIP_3) | instid1(VALU_DEP_4)
	v_fmamk_f32 v12, v49, 0xbf7ba420, v9
	v_fma_f32 v21, 0xbf7ba420, v10, -v8
	v_fma_f32 v9, 0xbf7ba420, v49, -v9
	v_fmac_f32_e32 v8, 0xbf7ba420, v10
	v_add_f32_e32 v12, v12, v20
	s_delay_alu instid0(VALU_DEP_4) | instskip(SKIP_3) | instid1(VALU_DEP_4)
	v_dual_mul_f32 v20, 0x3eb8f4ab, v45 :: v_dual_add_f32 v19, v21, v19
	v_mul_f32_e32 v21, 0x3eb8f4ab, v7
	v_add_f32_e32 v9, v9, v13
	v_add_f32_e32 v13, v8, v14
	v_fmamk_f32 v47, v49, 0x3f6eb680, v20
	v_mul_f32_e32 v8, 0xbf06c442, v45
	v_fma_f32 v14, 0x3f6eb680, v10, -v21
	v_fma_f32 v20, 0x3f6eb680, v49, -v20
	v_fmac_f32_e32 v21, 0x3f6eb680, v10
	s_delay_alu instid0(VALU_DEP_4) | instskip(NEXT) | instid1(VALU_DEP_4)
	v_dual_add_f32 v18, v47, v18 :: v_dual_fmamk_f32 v47, v49, 0xbf59a7d5, v8
	v_add_f32_e32 v14, v14, v22
	v_mul_f32_e32 v22, 0xbf06c442, v7
	v_add_f32_e32 v20, v20, v25
	v_fma_f32 v8, 0xbf59a7d5, v49, -v8
	v_add_f32_e32 v25, v47, v27
	v_mul_f32_e32 v47, 0x3f2c7751, v7
	v_dual_add_f32 v21, v21, v26 :: v_dual_mul_f32 v26, 0x3f2c7751, v45
	v_fma_f32 v27, 0xbf59a7d5, v10, -v22
	v_dual_fmac_f32 v22, 0xbf59a7d5, v10 :: v_dual_add_f32 v17, v8, v17
	s_delay_alu instid0(VALU_DEP_4) | instskip(NEXT) | instid1(VALU_DEP_3)
	v_fma_f32 v8, 0x3f3d2fb0, v10, -v47
	v_dual_fmamk_f32 v50, v49, 0x3f3d2fb0, v26 :: v_dual_add_f32 v51, v27, v28
	s_delay_alu instid0(VALU_DEP_3) | instskip(SKIP_4) | instid1(VALU_DEP_4)
	v_add_f32_e32 v54, v22, v24
	v_fma_f32 v24, 0x3f3d2fb0, v49, -v26
	v_mul_f32_e32 v26, 0xbf4c4adb, v45
	v_add_f32_e32 v30, v8, v30
	v_mul_f32_e32 v8, 0xbf4c4adb, v7
	v_dual_fmac_f32 v47, 0x3f3d2fb0, v10 :: v_dual_add_f32 v24, v24, v29
	s_delay_alu instid0(VALU_DEP_4) | instskip(SKIP_1) | instid1(VALU_DEP_4)
	v_fmamk_f32 v27, v49, 0xbf1a4643, v26
	v_mul_f32_e32 v28, 0x3f65296c, v45
	v_fma_f32 v29, 0xbf1a4643, v10, -v8
	v_fma_f32 v26, 0xbf1a4643, v49, -v26
	v_fmac_f32_e32 v8, 0xbf1a4643, v10
	v_add_f32_e32 v22, v50, v32
	v_dual_add_f32 v32, v47, v33 :: v_dual_fmamk_f32 v33, v49, 0x3ee437d1, v28
	v_add_f32_e32 v38, v29, v38
	v_add_f32_e32 v26, v26, v31
	v_mul_f32_e32 v29, 0x3f65296c, v7
	v_dual_add_f32 v31, v8, v36 :: v_dual_mul_f32 v8, 0xbf763a35, v45
	v_add_f32_e32 v27, v27, v34
	v_dual_add_f32 v33, v33, v37 :: v_dual_mul_f32 v34, 0xbf763a35, v7
	s_delay_alu instid0(VALU_DEP_4)
	v_fma_f32 v36, 0x3ee437d1, v10, -v29
	v_fma_f32 v28, 0x3ee437d1, v49, -v28
	v_fmac_f32_e32 v29, 0x3ee437d1, v10
	v_fmamk_f32 v37, v49, 0xbe8c1d8e, v8
	v_mul_f32_e32 v7, 0x3f7ee86f, v7
	v_add_f32_e32 v36, v36, v39
	s_delay_alu instid0(VALU_DEP_4) | instskip(NEXT) | instid1(VALU_DEP_4)
	v_dual_add_f32 v28, v28, v35 :: v_dual_add_f32 v35, v29, v41
	v_add_f32_e32 v29, v37, v40
	v_fma_f32 v47, 0xbe8c1d8e, v10, -v34
	v_fma_f32 v39, 0xbe8c1d8e, v49, -v8
	v_fmac_f32_e32 v34, 0xbe8c1d8e, v10
	v_lshlrev_b32_e32 v8, 2, v2
	s_delay_alu instid0(VALU_DEP_4) | instskip(NEXT) | instid1(VALU_DEP_3)
	v_dual_mul_f32 v2, 0x3f7ee86f, v45 :: v_dual_add_f32 v37, v47, v48
	v_dual_add_f32 v39, v39, v42 :: v_dual_add_f32 v40, v34, v44
	s_delay_alu instid0(VALU_DEP_2) | instskip(SKIP_3) | instid1(VALU_DEP_4)
	v_dual_fmamk_f32 v41, v49, 0x3dbcf732, v2 :: v_dual_add_nc_u32 v34, 0, v8
	v_fma_f32 v42, 0x3dbcf732, v10, -v7
	v_fma_f32 v2, 0x3dbcf732, v49, -v2
	v_fmac_f32_e32 v7, 0x3dbcf732, v10
	v_mad_u32_u24 v44, 0x44, v1, v34
	v_add_f32_e32 v10, v41, v46
	ds_store_2addr_b32 v44, v0, v12 offset1:1
	ds_store_2addr_b32 v44, v18, v25 offset0:2 offset1:3
	ds_store_2addr_b32 v44, v22, v27 offset0:4 offset1:5
	;; [unrolled: 1-line block ×3, first 2 shown]
	v_add_f32_e32 v2, v2, v11
	v_add_f32_e32 v15, v7, v15
	v_subrev_nc_u32_e32 v7, 17, v1
	ds_store_2addr_b32 v44, v10, v2 offset0:8 offset1:9
	ds_store_2addr_b32 v44, v39, v28 offset0:10 offset1:11
	;; [unrolled: 1-line block ×4, first 2 shown]
	ds_store_b32 v44, v9 offset:64
	v_lshlrev_b32_e32 v0, 2, v1
	v_cndmask_b32_e64 v9, v7, v1, s0
	v_mov_b32_e32 v11, 0
	global_wb scope:SCOPE_SE
	s_wait_dscnt 0x0
	s_wait_kmcnt 0x0
	s_barrier_signal -1
	v_add_nc_u32_e32 v2, v34, v0
	v_lshlrev_b32_e32 v10, 4, v9
	v_add3_u32 v0, 0, v0, v8
	s_barrier_wait -1
	global_inv scope:SCOPE_SE
	ds_load_b32 v39, v2
	v_lshlrev_b64_e32 v[10:11], 3, v[10:11]
	v_add_nc_u32_e32 v34, 0x400, v0
	v_add_f32_e32 v16, v42, v16
	v_add_nc_u32_e32 v22, 0x200, v0
	v_add_nc_u32_e32 v45, 0x600, v0
	ds_load_2addr_b32 v[24:25], v0 offset0:34 offset1:68
	ds_load_2addr_b32 v[26:27], v0 offset0:102 offset1:136
	;; [unrolled: 1-line block ×8, first 2 shown]
	global_wb scope:SCOPE_SE
	s_wait_dscnt 0x0
	s_barrier_signal -1
	s_barrier_wait -1
	global_inv scope:SCOPE_SE
	ds_store_2addr_b32 v44, v23, v19 offset1:1
	ds_store_2addr_b32 v44, v14, v51 offset0:2 offset1:3
	ds_store_2addr_b32 v44, v30, v38 offset0:4 offset1:5
	;; [unrolled: 1-line block ×3, first 2 shown]
	v_add_co_u32 v30, s1, s4, v10
	ds_store_2addr_b32 v44, v16, v15 offset0:8 offset1:9
	ds_store_2addr_b32 v44, v40, v35 offset0:10 offset1:11
	;; [unrolled: 1-line block ×4, first 2 shown]
	ds_store_b32 v44, v13 offset:64
	s_wait_alu 0xf1ff
	v_add_co_ci_u32_e64 v31, s1, s5, v11, s1
	global_wb scope:SCOPE_SE
	s_wait_dscnt 0x0
	s_barrier_signal -1
	s_barrier_wait -1
	global_inv scope:SCOPE_SE
	s_clause 0x7
	global_load_b128 v[10:13], v[30:31], off
	global_load_b128 v[14:17], v[30:31], off offset:16
	global_load_b128 v[18:21], v[30:31], off offset:32
	;; [unrolled: 1-line block ×7, first 2 shown]
	ds_load_2addr_b32 v[30:31], v0 offset0:34 offset1:68
	ds_load_2addr_b32 v[32:33], v0 offset0:102 offset1:136
	ds_load_b32 v50, v2
	ds_load_2addr_b32 v[41:42], v0 offset0:170 offset1:204
	ds_load_2addr_b32 v[80:81], v22 offset0:110 offset1:144
	;; [unrolled: 1-line block ×6, first 2 shown]
	v_cmp_lt_u32_e64 s1, 16, v1
	global_wb scope:SCOPE_SE
	s_wait_loadcnt_dscnt 0x0
	s_barrier_signal -1
	s_barrier_wait -1
	global_inv scope:SCOPE_SE
	v_lshlrev_b32_e32 v9, 2, v9
	v_mul_f32_e32 v54, v31, v13
	v_dual_mul_f32 v13, v25, v13 :: v_dual_mul_f32 v58, v30, v11
	v_mul_f32_e32 v11, v24, v11
	s_delay_alu instid0(VALU_DEP_3) | instskip(NEXT) | instid1(VALU_DEP_3)
	v_dual_mul_f32 v47, v32, v15 :: v_dual_fmac_f32 v54, v25, v12
	v_fma_f32 v55, v31, v12, -v13
	v_mul_f32_e32 v12, v27, v17
	v_fmac_f32_e32 v58, v24, v10
	v_fma_f32 v59, v30, v10, -v11
	v_mul_f32_e32 v10, v26, v15
	v_mul_f32_e32 v31, v42, v21
	v_fma_f32 v46, v33, v16, -v12
	v_dual_mul_f32 v12, v29, v21 :: v_dual_add_f32 v11, v39, v58
	s_delay_alu instid0(VALU_DEP_4) | instskip(NEXT) | instid1(VALU_DEP_4)
	v_fma_f32 v51, v32, v14, -v10
	v_fmac_f32_e32 v31, v29, v20
	v_mul_f32_e32 v29, v83, v63
	s_delay_alu instid0(VALU_DEP_4) | instskip(SKIP_2) | instid1(VALU_DEP_4)
	v_fma_f32 v32, v42, v20, -v12
	v_mul_f32_e32 v12, v49, v38
	v_dual_fmac_f32 v47, v26, v14 :: v_dual_mul_f32 v42, v85, v67
	v_fmac_f32_e32 v29, v53, v62
	v_mul_f32_e32 v13, v78, v73
	s_delay_alu instid0(VALU_DEP_4)
	v_fma_f32 v25, v81, v37, -v12
	v_mul_f32_e32 v12, v53, v63
	v_fmac_f32_e32 v42, v57, v66
	v_mul_f32_e32 v45, v33, v17
	v_mul_f32_e32 v33, v84, v65
	;; [unrolled: 1-line block ×3, first 2 shown]
	v_fma_f32 v30, v83, v62, -v12
	v_mul_f32_e32 v62, v89, v75
	v_mul_f32_e32 v12, v57, v67
	v_fma_f32 v57, v88, v72, -v13
	v_dual_mul_f32 v40, v41, v19 :: v_dual_fmac_f32 v33, v56, v64
	s_delay_alu instid0(VALU_DEP_4) | instskip(NEXT) | instid1(VALU_DEP_4)
	v_fmac_f32_e32 v62, v79, v74
	v_fma_f32 v44, v85, v66, -v12
	v_mul_f32_e32 v12, v79, v75
	s_delay_alu instid0(VALU_DEP_4) | instskip(NEXT) | instid1(VALU_DEP_4)
	v_dual_sub_f32 v63, v55, v57 :: v_dual_fmac_f32 v40, v28, v18
	v_add_f32_e32 v14, v58, v62
	v_dual_add_f32 v10, v11, v54 :: v_dual_mul_f32 v11, v28, v19
	v_fmac_f32_e32 v45, v27, v16
	v_dual_mul_f32 v27, v80, v36 :: v_dual_mul_f32 v24, v82, v61
	v_fmac_f32_e32 v23, v49, v37
	s_delay_alu instid0(VALU_DEP_4) | instskip(SKIP_1) | instid1(VALU_DEP_4)
	v_fma_f32 v41, v41, v18, -v11
	v_mul_f32_e32 v11, v48, v36
	v_fmac_f32_e32 v27, v48, v35
	v_mul_f32_e32 v67, 0xbf2c7751, v63
	s_delay_alu instid0(VALU_DEP_3) | instskip(SKIP_2) | instid1(VALU_DEP_2)
	v_fma_f32 v28, v80, v35, -v11
	v_mul_f32_e32 v11, v52, v61
	v_mul_f32_e32 v61, v88, v73
	v_fma_f32 v26, v82, v60, -v11
	v_mul_f32_e32 v11, v56, v65
	v_fma_f32 v56, v89, v74, -v12
	s_delay_alu instid0(VALU_DEP_4) | instskip(NEXT) | instid1(VALU_DEP_3)
	v_fmac_f32_e32 v61, v78, v72
	v_fma_f32 v35, v84, v64, -v11
	s_delay_alu instid0(VALU_DEP_3) | instskip(NEXT) | instid1(VALU_DEP_1)
	v_dual_sub_f32 v12, v59, v56 :: v_dual_mul_f32 v11, v76, v69
	v_mul_f32_e32 v19, 0xbf7ee86f, v12
	s_delay_alu instid0(VALU_DEP_2)
	v_fma_f32 v49, v86, v68, -v11
	v_mul_f32_e32 v11, v77, v71
	v_mul_f32_e32 v15, 0xbeb8f4ab, v12
	v_mul_f32_e32 v16, 0xbf65296c, v12
	v_fmamk_f32 v21, v14, 0x3dbcf732, v19
	v_fma_f32 v19, 0x3dbcf732, v14, -v19
	v_fma_f32 v53, v87, v70, -v11
	v_mul_f32_e32 v11, 0xbf2c7751, v12
	v_mul_f32_e32 v20, 0xbf763a35, v12
	s_delay_alu instid0(VALU_DEP_4)
	v_dual_mul_f32 v36, 0xbf4c4adb, v12 :: v_dual_add_f32 v19, v39, v19
	v_mul_f32_e32 v48, v86, v69
	v_dual_add_f32 v66, v54, v61 :: v_dual_mul_f32 v69, 0xbe3c28d5, v63
	v_fmac_f32_e32 v24, v52, v60
	v_mul_f32_e32 v60, 0xbf06c442, v12
	v_mul_f32_e32 v12, 0xbe3c28d5, v12
	v_dual_fmamk_f32 v13, v14, 0x3f6eb680, v15 :: v_dual_fmac_f32 v48, v76, v68
	v_fma_f32 v15, 0x3f6eb680, v14, -v15
	s_delay_alu instid0(VALU_DEP_4)
	v_fmamk_f32 v64, v14, 0xbf59a7d5, v60
	v_fma_f32 v60, 0xbf59a7d5, v14, -v60
	v_fmamk_f32 v65, v14, 0xbf7ba420, v12
	v_fmamk_f32 v17, v14, 0x3f3d2fb0, v11
	v_add_f32_e32 v13, v39, v13
	v_fma_f32 v11, 0x3f3d2fb0, v14, -v11
	v_fmamk_f32 v18, v14, 0x3ee437d1, v16
	v_fma_f32 v16, 0x3ee437d1, v14, -v16
	v_fmamk_f32 v37, v14, 0xbe8c1d8e, v20
	;; [unrolled: 2-line block ×3, first 2 shown]
	v_fma_f32 v36, 0xbf1a4643, v14, -v36
	v_fma_f32 v12, 0xbf7ba420, v14, -v12
	v_add_f32_e32 v14, v39, v60
	v_dual_add_f32 v60, v39, v65 :: v_dual_fmamk_f32 v65, v66, 0x3f3d2fb0, v67
	v_add_f32_e32 v10, v10, v47
	v_add_f32_e32 v15, v39, v15
	v_add_f32_e32 v17, v39, v17
	v_add_f32_e32 v11, v39, v11
	v_add_f32_e32 v13, v65, v13
	v_add_f32_e32 v10, v10, v45
	v_add_f32_e32 v18, v39, v18
	v_add_f32_e32 v16, v39, v16
	v_add_f32_e32 v21, v39, v21
	v_add_f32_e32 v37, v39, v37
	v_add_f32_e32 v20, v39, v20
	v_add_f32_e32 v38, v39, v38
	v_add_f32_e32 v36, v39, v36
	v_add_f32_e32 v64, v39, v64
	v_mul_f32_e32 v68, 0xbf7ee86f, v63
	v_add_f32_e32 v12, v39, v12
	v_fma_f32 v39, 0x3f3d2fb0, v66, -v67
	v_dual_mul_f32 v67, 0xbf4c4adb, v63 :: v_dual_add_f32 v10, v10, v40
	s_delay_alu instid0(VALU_DEP_4) | instskip(SKIP_1) | instid1(VALU_DEP_4)
	v_fmamk_f32 v65, v66, 0x3dbcf732, v68
	v_fma_f32 v68, 0x3dbcf732, v66, -v68
	v_add_f32_e32 v15, v39, v15
	s_delay_alu instid0(VALU_DEP_4) | instskip(NEXT) | instid1(VALU_DEP_4)
	v_fmamk_f32 v39, v66, 0xbf1a4643, v67
	v_dual_add_f32 v10, v10, v31 :: v_dual_add_f32 v17, v65, v17
	v_fma_f32 v65, 0xbf1a4643, v66, -v67
	s_delay_alu instid0(VALU_DEP_3) | instskip(SKIP_1) | instid1(VALU_DEP_4)
	v_dual_mul_f32 v67, 0x3f06c442, v63 :: v_dual_add_f32 v18, v39, v18
	v_fmamk_f32 v39, v66, 0xbf7ba420, v69
	v_add_f32_e32 v10, v10, v27
	v_add_f32_e32 v11, v68, v11
	v_fma_f32 v68, 0xbf7ba420, v66, -v69
	s_delay_alu instid0(VALU_DEP_4)
	v_dual_add_f32 v16, v65, v16 :: v_dual_add_f32 v21, v39, v21
	v_fmamk_f32 v39, v66, 0xbf59a7d5, v67
	v_add_f32_e32 v10, v10, v23
	v_mul_f32_e32 v65, 0x3f763a35, v63
	v_mul_f32_e32 v69, 0x3f65296c, v63
	v_add_f32_e32 v19, v68, v19
	s_delay_alu instid0(VALU_DEP_4) | instskip(NEXT) | instid1(VALU_DEP_4)
	v_dual_add_f32 v37, v39, v37 :: v_dual_add_f32 v10, v10, v24
	v_fmamk_f32 v68, v66, 0xbe8c1d8e, v65
	v_fma_f32 v39, 0xbe8c1d8e, v66, -v65
	v_fmamk_f32 v65, v66, 0x3ee437d1, v69
	s_delay_alu instid0(VALU_DEP_4)
	v_dual_mul_f32 v63, 0x3eb8f4ab, v63 :: v_dual_add_f32 v10, v10, v29
	v_mul_f32_e32 v52, v87, v71
	v_fma_f32 v67, 0xbf59a7d5, v66, -v67
	v_add_f32_e32 v36, v39, v36
	v_sub_f32_e32 v39, v51, v53
	v_add_f32_e32 v10, v10, v33
	v_dual_add_f32 v64, v65, v64 :: v_dual_fmamk_f32 v65, v66, 0x3f6eb680, v63
	v_fmac_f32_e32 v52, v77, v70
	v_add_f32_e32 v20, v67, v20
	s_delay_alu instid0(VALU_DEP_4) | instskip(SKIP_3) | instid1(VALU_DEP_4)
	v_add_f32_e32 v10, v10, v42
	v_add_f32_e32 v38, v68, v38
	v_fma_f32 v67, 0x3ee437d1, v66, -v69
	v_dual_mul_f32 v69, 0xbf65296c, v39 :: v_dual_add_f32 v68, v47, v52
	v_add_f32_e32 v10, v10, v48
	v_fma_f32 v63, 0x3f6eb680, v66, -v63
	s_delay_alu instid0(VALU_DEP_4)
	v_add_f32_e32 v14, v67, v14
	v_dual_add_f32 v60, v65, v60 :: v_dual_mul_f32 v65, 0xbf4c4adb, v39
	v_fmamk_f32 v66, v68, 0x3ee437d1, v69
	v_fma_f32 v67, 0x3ee437d1, v68, -v69
	v_add_f32_e32 v10, v10, v52
	v_dual_add_f32 v12, v63, v12 :: v_dual_mul_f32 v63, 0x3e3c28d5, v39
	v_fmamk_f32 v69, v68, 0xbf1a4643, v65
	v_add_f32_e32 v13, v66, v13
	v_add_f32_e32 v15, v67, v15
	v_fma_f32 v65, 0xbf1a4643, v68, -v65
	v_add_f32_e32 v10, v10, v61
	v_fmamk_f32 v66, v68, 0xbf7ba420, v63
	v_mul_f32_e32 v67, 0x3f763a35, v39
	v_fma_f32 v63, 0xbf7ba420, v68, -v63
	s_delay_alu instid0(VALU_DEP_4) | instskip(NEXT) | instid1(VALU_DEP_4)
	v_dual_add_f32 v11, v65, v11 :: v_dual_add_f32 v10, v10, v62
	v_dual_mul_f32 v65, 0x3f2c7751, v39 :: v_dual_add_f32 v18, v66, v18
	s_delay_alu instid0(VALU_DEP_4) | instskip(NEXT) | instid1(VALU_DEP_4)
	v_fmamk_f32 v66, v68, 0xbe8c1d8e, v67
	v_add_f32_e32 v16, v63, v16
	v_fma_f32 v63, 0xbe8c1d8e, v68, -v67
	v_mul_f32_e32 v67, 0xbeb8f4ab, v39
	v_add_f32_e32 v17, v69, v17
	v_fmamk_f32 v69, v68, 0x3f3d2fb0, v65
	v_fma_f32 v65, 0x3f3d2fb0, v68, -v65
	v_add_f32_e32 v19, v63, v19
	v_fmamk_f32 v63, v68, 0x3f6eb680, v67
	v_add_f32_e32 v21, v66, v21
	v_add_f32_e32 v37, v69, v37
	v_dual_add_f32 v20, v65, v20 :: v_dual_mul_f32 v65, 0xbf7ee86f, v39
	s_delay_alu instid0(VALU_DEP_4) | instskip(SKIP_3) | instid1(VALU_DEP_4)
	v_dual_add_f32 v38, v63, v38 :: v_dual_mul_f32 v39, 0xbf06c442, v39
	v_sub_f32_e32 v63, v46, v49
	v_fma_f32 v66, 0x3f6eb680, v68, -v67
	v_add_f32_e32 v69, v45, v48
	v_fmamk_f32 v67, v68, 0xbf59a7d5, v39
	s_delay_alu instid0(VALU_DEP_4) | instskip(SKIP_1) | instid1(VALU_DEP_3)
	v_mul_f32_e32 v70, 0xbf7ee86f, v63
	v_fma_f32 v39, 0xbf59a7d5, v68, -v39
	v_dual_add_f32 v60, v67, v60 :: v_dual_mul_f32 v67, 0x3f763a35, v63
	s_delay_alu instid0(VALU_DEP_2) | instskip(NEXT) | instid1(VALU_DEP_4)
	v_add_f32_e32 v12, v39, v12
	v_fma_f32 v39, 0x3dbcf732, v69, -v70
	s_delay_alu instid0(VALU_DEP_1) | instskip(SKIP_4) | instid1(VALU_DEP_4)
	v_dual_add_f32 v15, v39, v15 :: v_dual_add_f32 v36, v66, v36
	v_fmamk_f32 v66, v68, 0x3dbcf732, v65
	v_fma_f32 v65, 0x3dbcf732, v68, -v65
	v_fmamk_f32 v39, v69, 0xbe8c1d8e, v67
	v_mul_f32_e32 v68, 0x3eb8f4ab, v63
	v_add_f32_e32 v64, v66, v64
	s_delay_alu instid0(VALU_DEP_4) | instskip(SKIP_3) | instid1(VALU_DEP_3)
	v_add_f32_e32 v14, v65, v14
	v_fmamk_f32 v65, v69, 0x3dbcf732, v70
	v_mul_f32_e32 v66, 0xbe3c28d5, v63
	v_dual_add_f32 v18, v39, v18 :: v_dual_fmamk_f32 v39, v69, 0x3f6eb680, v68
	v_add_f32_e32 v13, v65, v13
	s_delay_alu instid0(VALU_DEP_3) | instskip(SKIP_1) | instid1(VALU_DEP_4)
	v_fmamk_f32 v65, v69, 0xbf7ba420, v66
	v_fma_f32 v66, 0xbf7ba420, v69, -v66
	v_add_f32_e32 v21, v39, v21
	s_delay_alu instid0(VALU_DEP_3) | instskip(NEXT) | instid1(VALU_DEP_3)
	v_add_f32_e32 v17, v65, v17
	v_add_f32_e32 v11, v66, v11
	v_fma_f32 v65, 0xbe8c1d8e, v69, -v67
	v_mul_f32_e32 v66, 0xbf65296c, v63
	v_fma_f32 v67, 0x3f6eb680, v69, -v68
	v_mul_f32_e32 v68, 0x3f4c4adb, v63
	s_delay_alu instid0(VALU_DEP_4) | instskip(NEXT) | instid1(VALU_DEP_4)
	v_dual_add_f32 v16, v65, v16 :: v_dual_mul_f32 v65, 0xbf06c442, v63
	v_fmamk_f32 v39, v69, 0x3ee437d1, v66
	s_delay_alu instid0(VALU_DEP_4)
	v_add_f32_e32 v19, v67, v19
	v_mul_f32_e32 v63, 0x3f2c7751, v63
	v_fma_f32 v66, 0x3ee437d1, v69, -v66
	v_fmamk_f32 v67, v69, 0xbf59a7d5, v65
	v_add_f32_e32 v37, v39, v37
	v_fma_f32 v39, 0xbf59a7d5, v69, -v65
	s_delay_alu instid0(VALU_DEP_4) | instskip(NEXT) | instid1(VALU_DEP_4)
	v_dual_fmamk_f32 v65, v69, 0xbf1a4643, v68 :: v_dual_add_f32 v20, v66, v20
	v_add_f32_e32 v38, v67, v38
	s_delay_alu instid0(VALU_DEP_3) | instskip(SKIP_1) | instid1(VALU_DEP_4)
	v_dual_add_f32 v67, v40, v42 :: v_dual_add_f32 v36, v39, v36
	v_sub_f32_e32 v39, v41, v44
	v_add_f32_e32 v64, v65, v64
	v_fmamk_f32 v65, v69, 0x3f3d2fb0, v63
	v_fma_f32 v66, 0xbf1a4643, v69, -v68
	v_fma_f32 v63, 0x3f3d2fb0, v69, -v63
	s_delay_alu instid0(VALU_DEP_3) | instskip(NEXT) | instid1(VALU_DEP_1)
	v_dual_add_f32 v60, v65, v60 :: v_dual_mul_f32 v65, 0x3f06c442, v39
	v_fmamk_f32 v69, v67, 0xbf59a7d5, v65
	v_fma_f32 v65, 0xbf59a7d5, v67, -v65
	s_delay_alu instid0(VALU_DEP_2) | instskip(NEXT) | instid1(VALU_DEP_2)
	v_add_f32_e32 v17, v69, v17
	v_add_f32_e32 v11, v65, v11
	v_mul_f32_e32 v65, 0xbe3c28d5, v39
	s_delay_alu instid0(VALU_DEP_1) | instskip(SKIP_1) | instid1(VALU_DEP_2)
	v_fmamk_f32 v69, v67, 0xbf7ba420, v65
	v_fma_f32 v65, 0xbf7ba420, v67, -v65
	v_dual_add_f32 v37, v69, v37 :: v_dual_mul_f32 v68, 0xbf763a35, v39
	s_delay_alu instid0(VALU_DEP_2) | instskip(SKIP_1) | instid1(VALU_DEP_3)
	v_dual_add_f32 v20, v65, v20 :: v_dual_mul_f32 v65, 0xbeb8f4ab, v39
	v_dual_add_f32 v69, v31, v33 :: v_dual_add_f32 v14, v66, v14
	v_fmamk_f32 v66, v67, 0xbe8c1d8e, v68
	v_fma_f32 v68, 0xbe8c1d8e, v67, -v68
	v_dual_add_f32 v12, v63, v12 :: v_dual_mul_f32 v63, 0x3f2c7751, v39
	s_delay_alu instid0(VALU_DEP_3) | instskip(NEXT) | instid1(VALU_DEP_3)
	v_add_f32_e32 v13, v66, v13
	v_add_f32_e32 v15, v68, v15
	v_mul_f32_e32 v68, 0xbf65296c, v39
	s_delay_alu instid0(VALU_DEP_4) | instskip(SKIP_1) | instid1(VALU_DEP_2)
	v_fmamk_f32 v66, v67, 0x3f3d2fb0, v63
	v_fma_f32 v63, 0x3f3d2fb0, v67, -v63
	v_add_f32_e32 v18, v66, v18
	s_delay_alu instid0(VALU_DEP_4) | instskip(NEXT) | instid1(VALU_DEP_3)
	v_fmamk_f32 v66, v67, 0x3ee437d1, v68
	v_add_f32_e32 v16, v63, v16
	v_fma_f32 v63, 0x3ee437d1, v67, -v68
	v_mul_f32_e32 v68, 0x3f7ee86f, v39
	v_mul_f32_e32 v39, 0xbf4c4adb, v39
	v_add_f32_e32 v21, v66, v21
	s_delay_alu instid0(VALU_DEP_4) | instskip(NEXT) | instid1(VALU_DEP_4)
	v_add_f32_e32 v19, v63, v19
	v_fmamk_f32 v63, v67, 0x3dbcf732, v68
	v_fma_f32 v66, 0x3dbcf732, v67, -v68
	v_fmamk_f32 v68, v67, 0xbf1a4643, v39
	v_fma_f32 v39, 0xbf1a4643, v67, -v39
	s_delay_alu instid0(VALU_DEP_4) | instskip(NEXT) | instid1(VALU_DEP_4)
	v_dual_add_f32 v38, v63, v38 :: v_dual_sub_f32 v63, v32, v35
	v_add_f32_e32 v36, v66, v36
	v_fmamk_f32 v66, v67, 0x3f6eb680, v65
	v_fma_f32 v65, 0x3f6eb680, v67, -v65
	v_add_f32_e32 v12, v39, v12
	v_mul_f32_e32 v70, 0xbf4c4adb, v63
	s_delay_alu instid0(VALU_DEP_3) | instskip(NEXT) | instid1(VALU_DEP_2)
	v_dual_mul_f32 v67, 0xbeb8f4ab, v63 :: v_dual_add_f32 v14, v65, v14
	v_fma_f32 v39, 0xbf1a4643, v69, -v70
	v_fmamk_f32 v65, v69, 0xbf1a4643, v70
	s_delay_alu instid0(VALU_DEP_2) | instskip(NEXT) | instid1(VALU_DEP_2)
	v_dual_add_f32 v15, v39, v15 :: v_dual_add_f32 v64, v66, v64
	v_dual_mul_f32 v66, 0x3f763a35, v63 :: v_dual_add_f32 v13, v65, v13
	v_fmamk_f32 v39, v69, 0x3f6eb680, v67
	s_delay_alu instid0(VALU_DEP_2) | instskip(SKIP_1) | instid1(VALU_DEP_2)
	v_fmamk_f32 v65, v69, 0xbe8c1d8e, v66
	v_fma_f32 v66, 0xbe8c1d8e, v69, -v66
	v_dual_add_f32 v18, v39, v18 :: v_dual_add_f32 v17, v65, v17
	s_delay_alu instid0(VALU_DEP_2) | instskip(SKIP_3) | instid1(VALU_DEP_3)
	v_dual_add_f32 v11, v66, v11 :: v_dual_add_f32 v60, v68, v60
	v_mul_f32_e32 v68, 0xbf06c442, v63
	v_fma_f32 v65, 0x3f6eb680, v69, -v67
	v_mul_f32_e32 v66, 0x3f7ee86f, v63
	v_fmamk_f32 v39, v69, 0xbf59a7d5, v68
	v_fma_f32 v67, 0xbf59a7d5, v69, -v68
	s_delay_alu instid0(VALU_DEP_4) | instskip(NEXT) | instid1(VALU_DEP_3)
	v_dual_add_f32 v16, v65, v16 :: v_dual_mul_f32 v65, 0xbf2c7751, v63
	v_dual_mul_f32 v68, 0xbe3c28d5, v63 :: v_dual_add_f32 v21, v39, v21
	v_fmamk_f32 v39, v69, 0x3dbcf732, v66
	s_delay_alu instid0(VALU_DEP_4) | instskip(NEXT) | instid1(VALU_DEP_4)
	v_add_f32_e32 v19, v67, v19
	v_fmamk_f32 v67, v69, 0x3f3d2fb0, v65
	v_mul_f32_e32 v63, 0x3f65296c, v63
	v_fma_f32 v66, 0x3dbcf732, v69, -v66
	v_add_f32_e32 v37, v39, v37
	v_fma_f32 v39, 0x3f3d2fb0, v69, -v65
	s_delay_alu instid0(VALU_DEP_1) | instskip(NEXT) | instid1(VALU_DEP_1)
	v_dual_fmamk_f32 v65, v69, 0xbf7ba420, v68 :: v_dual_add_f32 v36, v39, v36
	v_dual_sub_f32 v39, v28, v30 :: v_dual_add_f32 v64, v65, v64
	v_dual_fmamk_f32 v65, v69, 0x3ee437d1, v63 :: v_dual_add_f32 v38, v67, v38
	v_dual_add_f32 v67, v27, v29 :: v_dual_add_f32 v20, v66, v20
	v_fma_f32 v66, 0xbf7ba420, v69, -v68
	s_delay_alu instid0(VALU_DEP_3) | instskip(SKIP_1) | instid1(VALU_DEP_2)
	v_dual_add_f32 v60, v65, v60 :: v_dual_mul_f32 v65, 0x3f65296c, v39
	v_fma_f32 v63, 0x3ee437d1, v69, -v63
	v_dual_add_f32 v14, v66, v14 :: v_dual_fmamk_f32 v69, v67, 0x3ee437d1, v65
	v_fma_f32 v65, 0x3ee437d1, v67, -v65
	s_delay_alu instid0(VALU_DEP_2) | instskip(NEXT) | instid1(VALU_DEP_2)
	v_add_f32_e32 v17, v69, v17
	v_add_f32_e32 v11, v65, v11
	v_mul_f32_e32 v65, 0xbeb8f4ab, v39
	v_mul_f32_e32 v68, 0xbf06c442, v39
	s_delay_alu instid0(VALU_DEP_2) | instskip(NEXT) | instid1(VALU_DEP_2)
	v_fmamk_f32 v69, v67, 0x3f6eb680, v65
	v_fmamk_f32 v66, v67, 0xbf59a7d5, v68
	v_fma_f32 v68, 0xbf59a7d5, v67, -v68
	v_fma_f32 v65, 0x3f6eb680, v67, -v65
	s_delay_alu instid0(VALU_DEP_4)
	v_add_f32_e32 v37, v69, v37
	v_add_f32_e32 v69, v23, v24
	v_dual_add_f32 v12, v63, v12 :: v_dual_mul_f32 v63, 0xbf7ee86f, v39
	v_add_f32_e32 v13, v66, v13
	v_add_f32_e32 v15, v68, v15
	v_mul_f32_e32 v68, 0x3f4c4adb, v39
	v_add_f32_e32 v20, v65, v20
	v_fmamk_f32 v66, v67, 0x3dbcf732, v63
	v_fma_f32 v63, 0x3dbcf732, v67, -v63
	s_delay_alu instid0(VALU_DEP_2) | instskip(SKIP_1) | instid1(VALU_DEP_3)
	v_dual_mul_f32 v65, 0x3f2c7751, v39 :: v_dual_add_f32 v18, v66, v18
	v_fmamk_f32 v66, v67, 0xbf1a4643, v68
	v_add_f32_e32 v16, v63, v16
	v_fma_f32 v63, 0xbf1a4643, v67, -v68
	v_mul_f32_e32 v68, 0xbe3c28d5, v39
	v_mul_f32_e32 v39, 0xbf763a35, v39
	v_add_f32_e32 v21, v66, v21
	s_delay_alu instid0(VALU_DEP_4) | instskip(NEXT) | instid1(VALU_DEP_4)
	v_add_f32_e32 v19, v63, v19
	v_fmamk_f32 v63, v67, 0xbf7ba420, v68
	v_fma_f32 v66, 0xbf7ba420, v67, -v68
	v_fmamk_f32 v68, v67, 0xbe8c1d8e, v39
	s_delay_alu instid0(VALU_DEP_2) | instskip(SKIP_3) | instid1(VALU_DEP_3)
	v_dual_add_f32 v38, v63, v38 :: v_dual_add_f32 v63, v66, v36
	v_sub_f32_e32 v66, v25, v26
	v_fmamk_f32 v36, v67, 0x3f3d2fb0, v65
	v_fma_f32 v65, 0x3f3d2fb0, v67, -v65
	v_mul_f32_e32 v70, 0xbe3c28d5, v66
	s_delay_alu instid0(VALU_DEP_3) | instskip(NEXT) | instid1(VALU_DEP_3)
	v_add_f32_e32 v64, v36, v64
	v_add_f32_e32 v14, v65, v14
	v_fma_f32 v36, 0xbe8c1d8e, v67, -v39
	v_mul_f32_e32 v65, 0x3eb8f4ab, v66
	v_dual_add_f32 v39, v68, v60 :: v_dual_fmamk_f32 v60, v69, 0xbf7ba420, v70
	v_fma_f32 v67, 0xbf7ba420, v69, -v70
	v_mul_f32_e32 v68, 0xbf06c442, v66
	v_add_f32_e32 v12, v36, v12
	s_delay_alu instid0(VALU_DEP_4) | instskip(NEXT) | instid1(VALU_DEP_4)
	v_dual_add_f32 v13, v60, v13 :: v_dual_fmamk_f32 v60, v69, 0x3f6eb680, v65
	v_add_f32_e32 v36, v67, v15
	v_fma_f32 v15, 0x3f6eb680, v69, -v65
	v_fmamk_f32 v65, v69, 0xbf59a7d5, v68
	v_mul_f32_e32 v67, 0x3f2c7751, v66
	v_add_f32_e32 v17, v60, v17
	v_fma_f32 v60, 0xbf59a7d5, v69, -v68
	v_add_f32_e32 v11, v15, v11
	v_add_f32_e32 v15, v65, v18
	v_fmamk_f32 v18, v69, 0x3f3d2fb0, v67
	v_fma_f32 v67, 0x3f3d2fb0, v69, -v67
	v_add_f32_e32 v16, v60, v16
	s_delay_alu instid0(VALU_DEP_2) | instskip(SKIP_2) | instid1(VALU_DEP_2)
	v_dual_add_f32 v18, v18, v21 :: v_dual_add_f32 v19, v67, v19
	v_mul_f32_e32 v65, 0xbf4c4adb, v66
	v_mul_f32_e32 v60, 0x3f65296c, v66
	v_fmamk_f32 v21, v69, 0xbf1a4643, v65
	v_fma_f32 v65, 0xbf1a4643, v69, -v65
	s_delay_alu instid0(VALU_DEP_3) | instskip(SKIP_1) | instid1(VALU_DEP_4)
	v_fmamk_f32 v68, v69, 0x3ee437d1, v60
	v_fma_f32 v60, 0x3ee437d1, v69, -v60
	v_add_f32_e32 v21, v21, v37
	s_delay_alu instid0(VALU_DEP_4) | instskip(SKIP_4) | instid1(VALU_DEP_3)
	v_add_f32_e32 v20, v65, v20
	s_wait_alu 0xf1ff
	v_cndmask_b32_e64 v65, 0, 0x484, s1
	v_dual_add_f32 v63, v60, v63 :: v_dual_mul_f32 v60, 0x3f7ee86f, v66
	v_add_f32_e32 v37, v68, v38
	v_dual_mul_f32 v38, 0xbf763a35, v66 :: v_dual_add_nc_u32 v65, 0, v65
	s_delay_alu instid0(VALU_DEP_3) | instskip(SKIP_1) | instid1(VALU_DEP_3)
	v_fmamk_f32 v67, v69, 0x3dbcf732, v60
	v_fma_f32 v60, 0x3dbcf732, v69, -v60
	v_fmamk_f32 v66, v69, 0xbe8c1d8e, v38
	v_fma_f32 v38, 0xbe8c1d8e, v69, -v38
	s_delay_alu instid0(VALU_DEP_3) | instskip(SKIP_1) | instid1(VALU_DEP_4)
	v_add_f32_e32 v12, v60, v12
	v_add3_u32 v60, v65, v9, v8
	v_add_f32_e32 v64, v66, v64
	s_delay_alu instid0(VALU_DEP_4)
	v_add_f32_e32 v14, v38, v14
	v_add_f32_e32 v38, v67, v39
	ds_store_2addr_b32 v60, v10, v13 offset1:17
	ds_store_2addr_b32 v60, v17, v15 offset0:34 offset1:51
	ds_store_2addr_b32 v60, v18, v21 offset0:68 offset1:85
	ds_store_2addr_b32 v60, v37, v64 offset0:102 offset1:119
	ds_store_2addr_b32 v60, v38, v12 offset0:136 offset1:153
	ds_store_2addr_b32 v60, v14, v63 offset0:170 offset1:187
	ds_store_2addr_b32 v60, v20, v19 offset0:204 offset1:221
	ds_store_2addr_b32 v60, v16, v11 offset0:238 offset1:255
	ds_store_b32 v60, v36 offset:1088
	global_wb scope:SCOPE_SE
	s_wait_dscnt 0x0
	s_barrier_signal -1
	s_barrier_wait -1
	global_inv scope:SCOPE_SE
	ds_load_2addr_b32 v[12:13], v22 offset0:110 offset1:161
	ds_load_2addr_b32 v[8:9], v0 offset0:34 offset1:68
	;; [unrolled: 1-line block ×7, first 2 shown]
	ds_load_b32 v38, v2
	ds_load_b32 v39, v0 offset:2108
                                        ; implicit-def: $vgpr37
	s_and_saveexec_b32 s1, s0
	s_cbranch_execz .LBB0_14
; %bb.13:
	ds_load_b32 v36, v0 offset:1088
	ds_load_b32 v37, v0 offset:2244
.LBB0_14:
	s_wait_alu 0xfffe
	s_or_b32 exec_lo, exec_lo, s1
	v_add_f32_e32 v63, v50, v59
	v_dual_add_f32 v59, v59, v56 :: v_dual_sub_f32 v58, v58, v62
	v_add_f32_e32 v62, v55, v57
	s_delay_alu instid0(VALU_DEP_3) | instskip(NEXT) | instid1(VALU_DEP_3)
	v_dual_sub_f32 v54, v54, v61 :: v_dual_add_f32 v55, v63, v55
	v_mul_f32_e32 v61, 0x3f6eb680, v59
	s_delay_alu instid0(VALU_DEP_3) | instskip(SKIP_1) | instid1(VALU_DEP_4)
	v_dual_mul_f32 v68, 0xbf59a7d5, v59 :: v_dual_mul_f32 v73, 0xbf59a7d5, v62
	v_dual_mul_f32 v65, 0x3dbcf732, v59 :: v_dual_mul_f32 v70, 0x3dbcf732, v62
	v_dual_add_f32 v55, v55, v51 :: v_dual_mul_f32 v72, 0xbf7ba420, v62
	v_dual_mul_f32 v64, 0x3ee437d1, v59 :: v_dual_sub_f32 v47, v47, v52
	v_add_f32_e32 v51, v51, v53
	s_delay_alu instid0(VALU_DEP_3)
	v_dual_add_f32 v55, v55, v46 :: v_dual_mul_f32 v66, 0xbe8c1d8e, v59
	v_sub_f32_e32 v31, v31, v33
	v_sub_f32_e32 v23, v23, v24
	global_wb scope:SCOPE_SE
	s_wait_dscnt 0x0
	v_dual_add_f32 v55, v55, v41 :: v_dual_fmamk_f32 v74, v58, 0x3eb8f4ab, v61
	v_add_f32_e32 v41, v41, v44
	s_barrier_signal -1
	s_barrier_wait -1
	s_delay_alu instid0(VALU_DEP_2)
	v_dual_add_f32 v55, v55, v32 :: v_dual_fmamk_f32 v76, v58, 0x3f65296c, v64
	v_add_f32_e32 v74, v50, v74
	global_inv scope:SCOPE_SE
	v_dual_mul_f32 v52, 0x3ee437d1, v51 :: v_dual_add_f32 v55, v55, v28
	v_fmac_f32_e32 v64, 0xbf65296c, v58
	v_dual_mul_f32 v63, 0x3f3d2fb0, v59 :: v_dual_add_f32 v76, v50, v76
	v_add_f32_e32 v46, v46, v49
	s_delay_alu instid0(VALU_DEP_4) | instskip(NEXT) | instid1(VALU_DEP_4)
	v_dual_add_f32 v55, v55, v25 :: v_dual_fmamk_f32 v78, v58, 0x3f763a35, v66
	v_dual_mul_f32 v67, 0xbf1a4643, v59 :: v_dual_add_f32 v64, v50, v64
	v_sub_f32_e32 v45, v45, v48
	s_delay_alu instid0(VALU_DEP_3) | instskip(NEXT) | instid1(VALU_DEP_4)
	v_dual_add_f32 v55, v55, v26 :: v_dual_fmamk_f32 v80, v58, 0x3f06c442, v68
	v_dual_mul_f32 v59, 0xbf7ba420, v59 :: v_dual_add_f32 v78, v50, v78
	v_add_f32_e32 v25, v25, v26
	s_delay_alu instid0(VALU_DEP_3) | instskip(SKIP_1) | instid1(VALU_DEP_4)
	v_add_f32_e32 v55, v55, v30
	v_fmac_f32_e32 v66, 0xbf763a35, v58
	v_fmamk_f32 v81, v58, 0x3e3c28d5, v59
	v_dual_mul_f32 v69, 0x3f3d2fb0, v62 :: v_dual_add_f32 v80, v50, v80
	s_delay_alu instid0(VALU_DEP_4) | instskip(NEXT) | instid1(VALU_DEP_4)
	v_dual_add_f32 v55, v55, v35 :: v_dual_fmamk_f32 v82, v54, 0x3f7ee86f, v70
	v_add_f32_e32 v66, v50, v66
	v_fmamk_f32 v77, v58, 0x3f7ee86f, v65
	v_fmac_f32_e32 v59, 0xbe3c28d5, v58
	s_delay_alu instid0(VALU_DEP_4) | instskip(SKIP_1) | instid1(VALU_DEP_4)
	v_add_f32_e32 v55, v55, v44
	v_dual_add_f32 v81, v50, v81 :: v_dual_mul_f32 v48, 0x3dbcf732, v46
	v_add_f32_e32 v77, v50, v77
	v_fmac_f32_e32 v65, 0xbf7ee86f, v58
	s_delay_alu instid0(VALU_DEP_4) | instskip(SKIP_2) | instid1(VALU_DEP_4)
	v_add_f32_e32 v55, v55, v49
	v_dual_add_f32 v59, v50, v59 :: v_dual_sub_f32 v40, v40, v42
	v_mul_f32_e32 v42, 0xbe8c1d8e, v41
	v_add_f32_e32 v65, v50, v65
	s_delay_alu instid0(VALU_DEP_4) | instskip(SKIP_4) | instid1(VALU_DEP_4)
	v_add_f32_e32 v55, v55, v53
	v_fmac_f32_e32 v61, 0xbeb8f4ab, v58
	v_fmac_f32_e32 v68, 0xbf06c442, v58
	v_add_f32_e32 v32, v32, v35
	v_dual_add_f32 v28, v28, v30 :: v_dual_sub_f32 v27, v27, v29
	v_add_f32_e32 v61, v50, v61
	s_delay_alu instid0(VALU_DEP_4) | instskip(SKIP_3) | instid1(VALU_DEP_4)
	v_dual_mul_f32 v71, 0xbf1a4643, v62 :: v_dual_add_f32 v68, v50, v68
	v_fmamk_f32 v79, v58, 0x3f4c4adb, v67
	v_fmac_f32_e32 v67, 0xbf4c4adb, v58
	v_mul_f32_e32 v33, 0xbf1a4643, v32
	v_fmamk_f32 v83, v54, 0x3f4c4adb, v71
	v_fmac_f32_e32 v71, 0xbf4c4adb, v54
	v_fmamk_f32 v75, v58, 0x3f2c7751, v63
	v_fmac_f32_e32 v63, 0xbf2c7751, v58
	v_fmamk_f32 v58, v54, 0x3f2c7751, v69
	v_add_f32_e32 v79, v50, v79
	v_dual_add_f32 v67, v50, v67 :: v_dual_add_f32 v64, v71, v64
	v_fmac_f32_e32 v69, 0xbf2c7751, v54
	v_dual_fmac_f32 v70, 0xbf7ee86f, v54 :: v_dual_add_f32 v75, v50, v75
	v_dual_add_f32 v63, v50, v63 :: v_dual_add_f32 v50, v55, v57
	s_delay_alu instid0(VALU_DEP_3) | instskip(SKIP_2) | instid1(VALU_DEP_4)
	v_add_f32_e32 v55, v69, v61
	v_mul_f32_e32 v69, 0xbe8c1d8e, v62
	v_dual_add_f32 v58, v58, v74 :: v_dual_mul_f32 v29, 0xbf59a7d5, v28
	v_add_f32_e32 v50, v50, v56
	v_fmamk_f32 v56, v54, 0x3e3c28d5, v72
	v_fmac_f32_e32 v72, 0xbe3c28d5, v54
	v_fmamk_f32 v71, v54, 0xbf763a35, v69
	v_fmac_f32_e32 v69, 0x3f763a35, v54
	v_add_f32_e32 v61, v70, v63
	v_dual_add_f32 v63, v83, v76 :: v_dual_fmamk_f32 v70, v54, 0xbf06c442, v73
	v_dual_add_f32 v65, v72, v65 :: v_dual_mul_f32 v72, 0x3ee437d1, v62
	v_mul_f32_e32 v62, 0x3f6eb680, v62
	v_fmac_f32_e32 v73, 0x3f06c442, v54
	v_dual_add_f32 v67, v69, v67 :: v_dual_add_f32 v56, v56, v77
	s_delay_alu instid0(VALU_DEP_4) | instskip(SKIP_4) | instid1(VALU_DEP_4)
	v_fmamk_f32 v53, v54, 0xbf65296c, v72
	v_fmac_f32_e32 v72, 0x3f65296c, v54
	v_fmamk_f32 v69, v54, 0xbeb8f4ab, v62
	v_fmac_f32_e32 v62, 0x3eb8f4ab, v54
	v_dual_add_f32 v66, v73, v66 :: v_dual_add_f32 v57, v82, v75
	v_add_f32_e32 v54, v72, v68
	s_delay_alu instid0(VALU_DEP_4) | instskip(SKIP_3) | instid1(VALU_DEP_4)
	v_dual_add_f32 v68, v69, v81 :: v_dual_fmamk_f32 v69, v47, 0x3f65296c, v52
	v_fmac_f32_e32 v52, 0xbf65296c, v47
	v_mul_f32_e32 v72, 0xbf1a4643, v51
	v_add_f32_e32 v59, v62, v59
	v_dual_mul_f32 v73, 0xbe8c1d8e, v51 :: v_dual_add_f32 v58, v69, v58
	s_delay_alu instid0(VALU_DEP_3)
	v_dual_add_f32 v52, v52, v55 :: v_dual_fmamk_f32 v69, v47, 0x3f4c4adb, v72
	v_mul_f32_e32 v62, 0xbf7ba420, v51
	v_add_f32_e32 v70, v70, v78
	v_fmac_f32_e32 v72, 0xbf4c4adb, v47
	v_mul_f32_e32 v24, 0xbf7ba420, v25
	v_add_f32_e32 v57, v69, v57
	v_fmamk_f32 v55, v47, 0xbe3c28d5, v62
	v_mul_f32_e32 v69, 0x3f3d2fb0, v51
	v_fmac_f32_e32 v62, 0x3e3c28d5, v47
	s_delay_alu instid0(VALU_DEP_3) | instskip(SKIP_1) | instid1(VALU_DEP_3)
	v_add_f32_e32 v55, v55, v63
	v_fmamk_f32 v63, v47, 0xbf763a35, v73
	v_dual_fmac_f32 v73, 0x3f763a35, v47 :: v_dual_add_f32 v62, v62, v64
	s_delay_alu instid0(VALU_DEP_2) | instskip(SKIP_1) | instid1(VALU_DEP_3)
	v_add_f32_e32 v56, v63, v56
	v_fmamk_f32 v63, v47, 0xbf2c7751, v69
	v_add_f32_e32 v65, v73, v65
	v_mul_f32_e32 v73, 0x3dbcf732, v51
	v_fmac_f32_e32 v69, 0x3f2c7751, v47
	s_delay_alu instid0(VALU_DEP_4) | instskip(NEXT) | instid1(VALU_DEP_3)
	v_add_f32_e32 v63, v63, v70
	v_dual_fmamk_f32 v70, v47, 0x3f7ee86f, v73 :: v_dual_add_f32 v61, v72, v61
	v_mul_f32_e32 v64, 0x3f6eb680, v51
	v_mul_f32_e32 v51, 0xbf59a7d5, v51
	v_dual_fmac_f32 v73, 0xbf7ee86f, v47 :: v_dual_add_f32 v66, v69, v66
	s_delay_alu instid0(VALU_DEP_3) | instskip(SKIP_1) | instid1(VALU_DEP_3)
	v_fmamk_f32 v72, v47, 0x3eb8f4ab, v64
	v_fmac_f32_e32 v64, 0xbeb8f4ab, v47
	v_dual_add_f32 v54, v73, v54 :: v_dual_add_f32 v71, v71, v79
	s_delay_alu instid0(VALU_DEP_2) | instskip(NEXT) | instid1(VALU_DEP_2)
	v_dual_add_f32 v64, v64, v67 :: v_dual_fmamk_f32 v67, v45, 0x3f7ee86f, v48
	v_dual_fmac_f32 v48, 0xbf7ee86f, v45 :: v_dual_add_f32 v69, v72, v71
	s_delay_alu instid0(VALU_DEP_2) | instskip(NEXT) | instid1(VALU_DEP_2)
	v_dual_add_f32 v58, v67, v58 :: v_dual_add_f32 v53, v53, v80
	v_dual_add_f32 v48, v48, v52 :: v_dual_mul_f32 v67, 0x3f6eb680, v46
	s_delay_alu instid0(VALU_DEP_2) | instskip(SKIP_2) | instid1(VALU_DEP_2)
	v_add_f32_e32 v49, v70, v53
	v_fmamk_f32 v53, v47, 0x3f06c442, v51
	v_fmac_f32_e32 v51, 0xbf06c442, v47
	v_add_f32_e32 v47, v53, v68
	v_mul_f32_e32 v53, 0xbf7ba420, v46
	s_delay_alu instid0(VALU_DEP_1) | instskip(SKIP_1) | instid1(VALU_DEP_1)
	v_dual_fmamk_f32 v68, v45, 0x3e3c28d5, v53 :: v_dual_add_f32 v51, v51, v59
	v_mul_f32_e32 v59, 0xbe8c1d8e, v46
	v_dual_add_f32 v57, v68, v57 :: v_dual_fmamk_f32 v52, v45, 0xbf763a35, v59
	s_delay_alu instid0(VALU_DEP_1) | instskip(NEXT) | instid1(VALU_DEP_1)
	v_dual_add_f32 v52, v52, v55 :: v_dual_mul_f32 v55, 0x3ee437d1, v46
	v_fmamk_f32 v68, v45, 0x3f65296c, v55
	v_fmac_f32_e32 v55, 0xbf65296c, v45
	s_delay_alu instid0(VALU_DEP_1) | instskip(SKIP_3) | instid1(VALU_DEP_3)
	v_add_f32_e32 v55, v55, v66
	v_mul_f32_e32 v66, 0xbf1a4643, v46
	v_fmac_f32_e32 v53, 0xbe3c28d5, v45
	v_fmac_f32_e32 v59, 0x3f763a35, v45
	v_fmamk_f32 v44, v45, 0xbf4c4adb, v66
	s_delay_alu instid0(VALU_DEP_3) | instskip(SKIP_1) | instid1(VALU_DEP_4)
	v_add_f32_e32 v53, v53, v61
	v_fmamk_f32 v61, v45, 0xbeb8f4ab, v67
	v_add_f32_e32 v59, v59, v62
	v_fmac_f32_e32 v67, 0x3eb8f4ab, v45
	v_mul_f32_e32 v62, 0xbf59a7d5, v46
	v_mul_f32_e32 v46, 0x3f3d2fb0, v46
	v_add_f32_e32 v56, v61, v56
	v_add_f32_e32 v44, v44, v49
	v_add_f32_e32 v61, v67, v65
	v_fmamk_f32 v65, v45, 0x3f06c442, v62
	v_fmac_f32_e32 v62, 0xbf06c442, v45
	v_fmamk_f32 v49, v40, 0x3f763a35, v42
	v_fmac_f32_e32 v42, 0xbf763a35, v40
	v_dual_fmac_f32 v66, 0x3f4c4adb, v45 :: v_dual_add_f32 v63, v68, v63
	s_delay_alu instid0(VALU_DEP_4) | instskip(SKIP_3) | instid1(VALU_DEP_3)
	v_add_f32_e32 v62, v62, v64
	v_fmamk_f32 v64, v45, 0xbf2c7751, v46
	v_fmac_f32_e32 v46, 0x3f2c7751, v45
	v_dual_add_f32 v42, v42, v48 :: v_dual_add_f32 v49, v49, v58
	v_add_f32_e32 v47, v64, v47
	s_delay_alu instid0(VALU_DEP_3) | instskip(SKIP_1) | instid1(VALU_DEP_2)
	v_dual_add_f32 v46, v46, v51 :: v_dual_mul_f32 v51, 0x3f3d2fb0, v41
	v_mul_f32_e32 v64, 0x3ee437d1, v41
	v_fmamk_f32 v48, v40, 0xbf2c7751, v51
	v_fmac_f32_e32 v51, 0x3f2c7751, v40
	s_delay_alu instid0(VALU_DEP_2) | instskip(NEXT) | instid1(VALU_DEP_4)
	v_add_f32_e32 v48, v48, v52
	v_fmamk_f32 v52, v40, 0x3f65296c, v64
	s_delay_alu instid0(VALU_DEP_3) | instskip(NEXT) | instid1(VALU_DEP_2)
	v_dual_fmac_f32 v64, 0xbf65296c, v40 :: v_dual_add_f32 v51, v51, v59
	v_add_f32_e32 v52, v52, v56
	s_delay_alu instid0(VALU_DEP_2) | instskip(SKIP_2) | instid1(VALU_DEP_1)
	v_add_f32_e32 v59, v64, v61
	v_dual_mul_f32 v64, 0x3f6eb680, v41 :: v_dual_add_f32 v45, v66, v54
	v_mul_f32_e32 v54, 0xbf59a7d5, v41
	v_fmamk_f32 v58, v40, 0xbf06c442, v54
	s_delay_alu instid0(VALU_DEP_1) | instskip(NEXT) | instid1(VALU_DEP_1)
	v_dual_fmac_f32 v54, 0x3f06c442, v40 :: v_dual_add_f32 v57, v58, v57
	v_add_f32_e32 v53, v54, v53
	v_mul_f32_e32 v54, 0xbf7ba420, v41
	v_mul_f32_e32 v58, 0x3dbcf732, v41
	s_delay_alu instid0(VALU_DEP_2) | instskip(SKIP_1) | instid1(VALU_DEP_3)
	v_dual_add_f32 v65, v65, v69 :: v_dual_fmamk_f32 v56, v40, 0x3e3c28d5, v54
	v_fmac_f32_e32 v54, 0xbe3c28d5, v40
	v_fmamk_f32 v61, v40, 0xbf7ee86f, v58
	v_fmac_f32_e32 v58, 0x3f7ee86f, v40
	s_delay_alu instid0(VALU_DEP_4) | instskip(NEXT) | instid1(VALU_DEP_3)
	v_add_f32_e32 v56, v56, v63
	v_dual_add_f32 v54, v54, v55 :: v_dual_add_f32 v55, v61, v65
	v_fmamk_f32 v61, v40, 0x3eb8f4ab, v64
	v_mul_f32_e32 v41, 0xbf1a4643, v41
	v_fmac_f32_e32 v64, 0xbeb8f4ab, v40
	s_delay_alu instid0(VALU_DEP_3) | instskip(NEXT) | instid1(VALU_DEP_3)
	v_dual_add_f32 v58, v58, v62 :: v_dual_add_f32 v35, v61, v44
	v_fmamk_f32 v44, v40, 0x3f4c4adb, v41
	v_fmac_f32_e32 v41, 0xbf4c4adb, v40
	s_delay_alu instid0(VALU_DEP_4) | instskip(NEXT) | instid1(VALU_DEP_2)
	v_add_f32_e32 v45, v64, v45
	v_dual_add_f32 v40, v44, v47 :: v_dual_add_f32 v41, v41, v46
	v_fmamk_f32 v47, v31, 0x3f4c4adb, v33
	v_fmac_f32_e32 v33, 0xbf4c4adb, v31
	v_mul_f32_e32 v46, 0x3f6eb680, v32
	s_delay_alu instid0(VALU_DEP_3) | instskip(NEXT) | instid1(VALU_DEP_2)
	v_dual_mul_f32 v44, 0xbe8c1d8e, v32 :: v_dual_add_f32 v47, v47, v49
	v_dual_add_f32 v33, v33, v42 :: v_dual_fmamk_f32 v42, v31, 0x3eb8f4ab, v46
	s_delay_alu instid0(VALU_DEP_1) | instskip(NEXT) | instid1(VALU_DEP_1)
	v_dual_fmamk_f32 v61, v31, 0xbf763a35, v44 :: v_dual_add_f32 v42, v42, v48
	v_dual_mul_f32 v48, 0x3dbcf732, v32 :: v_dual_add_f32 v49, v61, v57
	v_mul_f32_e32 v57, 0xbf59a7d5, v32
	s_delay_alu instid0(VALU_DEP_2) | instskip(SKIP_1) | instid1(VALU_DEP_1)
	v_fmamk_f32 v61, v31, 0xbf7ee86f, v48
	v_fmac_f32_e32 v48, 0x3f7ee86f, v31
	v_add_f32_e32 v48, v48, v54
	v_mul_f32_e32 v54, 0xbf7ba420, v32
	v_fmac_f32_e32 v44, 0x3f763a35, v31
	v_fmac_f32_e32 v46, 0xbeb8f4ab, v31
	s_delay_alu instid0(VALU_DEP_3) | instskip(NEXT) | instid1(VALU_DEP_3)
	v_fmamk_f32 v30, v31, 0x3e3c28d5, v54
	v_dual_add_f32 v44, v44, v53 :: v_dual_fmamk_f32 v53, v31, 0x3f06c442, v57
	s_delay_alu instid0(VALU_DEP_3) | instskip(NEXT) | instid1(VALU_DEP_3)
	v_dual_add_f32 v46, v46, v51 :: v_dual_mul_f32 v51, 0x3f3d2fb0, v32
	v_add_f32_e32 v30, v30, v35
	s_delay_alu instid0(VALU_DEP_3) | instskip(SKIP_2) | instid1(VALU_DEP_3)
	v_dual_fmac_f32 v57, 0xbf06c442, v31 :: v_dual_add_f32 v52, v53, v52
	v_mul_f32_e32 v32, 0x3ee437d1, v32
	v_fmac_f32_e32 v54, 0xbe3c28d5, v31
	v_add_f32_e32 v53, v57, v59
	v_fmamk_f32 v57, v31, 0x3f2c7751, v51
	s_delay_alu instid0(VALU_DEP_1) | instskip(SKIP_1) | instid1(VALU_DEP_1)
	v_add_f32_e32 v55, v57, v55
	v_fmamk_f32 v57, v31, 0xbf65296c, v32
	v_dual_fmac_f32 v32, 0x3f65296c, v31 :: v_dual_add_f32 v35, v57, v40
	v_fmamk_f32 v40, v27, 0x3f06c442, v29
	s_delay_alu instid0(VALU_DEP_2) | instskip(NEXT) | instid1(VALU_DEP_2)
	v_dual_add_f32 v32, v32, v41 :: v_dual_fmac_f32 v29, 0xbf06c442, v27
	v_dual_mul_f32 v41, 0x3dbcf732, v28 :: v_dual_add_f32 v40, v40, v47
	s_delay_alu instid0(VALU_DEP_2) | instskip(NEXT) | instid1(VALU_DEP_2)
	v_add_f32_e32 v29, v29, v33
	v_fmamk_f32 v33, v27, 0x3f7ee86f, v41
	v_fmac_f32_e32 v41, 0xbf7ee86f, v27
	v_fmac_f32_e32 v51, 0xbf2c7751, v31
	s_delay_alu instid0(VALU_DEP_2) | instskip(SKIP_3) | instid1(VALU_DEP_3)
	v_dual_add_f32 v41, v41, v46 :: v_dual_mul_f32 v46, 0xbf7ba420, v28
	v_dual_add_f32 v31, v54, v45 :: v_dual_mul_f32 v54, 0xbf1a4643, v28
	v_add_f32_e32 v33, v33, v42
	v_mul_f32_e32 v45, 0x3ee437d1, v28
	v_fmamk_f32 v42, v27, 0xbf4c4adb, v54
	v_fmac_f32_e32 v54, 0x3f4c4adb, v27
	s_delay_alu instid0(VALU_DEP_2) | instskip(NEXT) | instid1(VALU_DEP_2)
	v_dual_fmamk_f32 v47, v27, 0xbf65296c, v45 :: v_dual_add_f32 v42, v42, v52
	v_dual_add_f32 v52, v54, v53 :: v_dual_fmac_f32 v45, 0x3f65296c, v27
	s_delay_alu instid0(VALU_DEP_2)
	v_add_f32_e32 v47, v47, v49
	v_fmamk_f32 v53, v27, 0x3e3c28d5, v46
	v_mul_f32_e32 v54, 0x3f3d2fb0, v28
	v_fmac_f32_e32 v46, 0xbe3c28d5, v27
	v_add_f32_e32 v44, v45, v44
	v_mul_f32_e32 v45, 0x3f6eb680, v28
	v_mul_f32_e32 v28, 0xbe8c1d8e, v28
	s_delay_alu instid0(VALU_DEP_2) | instskip(SKIP_1) | instid1(VALU_DEP_1)
	v_fmamk_f32 v49, v27, 0x3eb8f4ab, v45
	v_fmac_f32_e32 v45, 0xbeb8f4ab, v27
	v_add_f32_e32 v45, v45, v48
	v_dual_add_f32 v48, v53, v55 :: v_dual_fmamk_f32 v53, v27, 0xbf2c7751, v54
	v_fmac_f32_e32 v54, 0x3f2c7751, v27
	s_delay_alu instid0(VALU_DEP_2) | instskip(SKIP_2) | instid1(VALU_DEP_2)
	v_add_f32_e32 v26, v53, v30
	v_fmamk_f32 v30, v27, 0x3f763a35, v28
	v_fmac_f32_e32 v28, 0xbf763a35, v27
	v_add_f32_e32 v27, v30, v35
	v_fmamk_f32 v35, v23, 0x3e3c28d5, v24
	v_fmac_f32_e32 v24, 0xbe3c28d5, v23
	v_mul_f32_e32 v30, 0x3f6eb680, v25
	v_add_f32_e32 v28, v28, v32
	v_add_f32_e32 v56, v61, v56
	v_dual_mul_f32 v32, 0xbf59a7d5, v25 :: v_dual_add_f32 v35, v35, v40
	v_dual_add_f32 v40, v24, v29 :: v_dual_add_f32 v51, v51, v58
	s_delay_alu instid0(VALU_DEP_2) | instskip(SKIP_1) | instid1(VALU_DEP_3)
	v_fmamk_f32 v24, v23, 0x3f06c442, v32
	v_fmac_f32_e32 v32, 0xbf06c442, v23
	v_dual_add_f32 v46, v46, v51 :: v_dual_fmamk_f32 v51, v23, 0xbeb8f4ab, v30
	v_dual_fmac_f32 v30, 0x3eb8f4ab, v23 :: v_dual_add_f32 v49, v49, v56
	s_delay_alu instid0(VALU_DEP_4) | instskip(SKIP_1) | instid1(VALU_DEP_4)
	v_add_f32_e32 v24, v24, v33
	v_mul_f32_e32 v33, 0xbf1a4643, v25
	v_add_f32_e32 v29, v51, v47
	v_mul_f32_e32 v47, 0x3f3d2fb0, v25
	v_add_f32_e32 v31, v54, v31
	v_add_f32_e32 v30, v30, v44
	v_add_f32_e32 v32, v32, v41
	v_mul_f32_e32 v41, 0x3ee437d1, v25
	v_fmamk_f32 v44, v23, 0xbf2c7751, v47
	v_fmac_f32_e32 v47, 0x3f2c7751, v23
	v_fmamk_f32 v51, v23, 0x3f4c4adb, v33
	s_delay_alu instid0(VALU_DEP_3) | instskip(NEXT) | instid1(VALU_DEP_3)
	v_dual_fmac_f32 v33, 0xbf4c4adb, v23 :: v_dual_add_f32 v42, v44, v42
	v_add_f32_e32 v44, v47, v52
	v_fmamk_f32 v47, v23, 0xbf65296c, v41
	s_delay_alu instid0(VALU_DEP_4)
	v_add_f32_e32 v49, v51, v49
	v_mul_f32_e32 v51, 0xbe8c1d8e, v25
	v_mul_f32_e32 v25, 0x3dbcf732, v25
	v_add_f32_e32 v33, v33, v45
	v_add_f32_e32 v45, v47, v48
	v_fmac_f32_e32 v41, 0x3f65296c, v23
	v_fmamk_f32 v47, v23, 0x3f763a35, v51
	v_fmac_f32_e32 v51, 0xbf763a35, v23
	v_fmamk_f32 v48, v23, 0xbf7ee86f, v25
	v_fmac_f32_e32 v25, 0x3f7ee86f, v23
	v_add_f32_e32 v23, v41, v46
	v_add_f32_e32 v26, v47, v26
	;; [unrolled: 1-line block ×5, first 2 shown]
	ds_store_2addr_b32 v60, v50, v35 offset1:17
	ds_store_2addr_b32 v60, v29, v24 offset0:34 offset1:51
	ds_store_2addr_b32 v60, v42, v49 offset0:68 offset1:85
	;; [unrolled: 1-line block ×7, first 2 shown]
	ds_store_b32 v60, v40 offset:1088
	global_wb scope:SCOPE_SE
	s_wait_dscnt 0x0
	s_barrier_signal -1
	s_barrier_wait -1
	global_inv scope:SCOPE_SE
	ds_load_2addr_b32 v[26:27], v22 offset0:110 offset1:161
	ds_load_2addr_b32 v[22:23], v0 offset0:34 offset1:68
	ds_load_2addr_b32 v[30:31], v34 offset0:67 offset1:101
	ds_load_2addr_b32 v[24:25], v0 offset0:102 offset1:136
	ds_load_2addr_b32 v[32:33], v34 offset0:135 offset1:169
	ds_load_2addr_b32 v[28:29], v0 offset0:170 offset1:204
	ds_load_2addr_b32 v[34:35], v34 offset0:203 offset1:237
	ds_load_b32 v42, v2
	ds_load_b32 v44, v0 offset:2108
                                        ; implicit-def: $vgpr41
	s_and_saveexec_b32 s1, s0
	s_cbranch_execz .LBB0_16
; %bb.15:
	ds_load_b32 v40, v0 offset:1088
	ds_load_b32 v41, v0 offset:2244
	v_add_nc_u32_e32 v7, 0x110, v1
.LBB0_16:
	s_wait_alu 0xfffe
	s_or_b32 exec_lo, exec_lo, s1
	s_and_saveexec_b32 s0, vcc_lo
	s_cbranch_execz .LBB0_19
; %bb.17:
	v_dual_mov_b32 v2, 0 :: v_dual_add_nc_u32 v63, 0x44, v43
	v_mul_lo_u32 v61, s3, v5
	v_mul_lo_u32 v6, s2, v6
	v_lshlrev_b64_e32 v[3:4], 3, v[3:4]
	s_delay_alu instid0(VALU_DEP_4) | instskip(SKIP_1) | instid1(VALU_DEP_2)
	v_lshlrev_b64_e32 v[0:1], 3, v[1:2]
	v_mul_hi_u32 v70, 0xe2c4a689, v63
	v_add_co_u32 v0, vcc_lo, s4, v0
	s_wait_alu 0xfffd
	s_delay_alu instid0(VALU_DEP_3) | instskip(NEXT) | instid1(VALU_DEP_3)
	v_add_co_ci_u32_e32 v1, vcc_lo, s5, v1, vcc_lo
	v_lshrrev_b32_e32 v70, 8, v70
	s_clause 0x7
	global_load_b64 v[45:46], v[0:1], off offset:4080
	global_load_b64 v[47:48], v[0:1], off offset:3808
	;; [unrolled: 1-line block ×8, first 2 shown]
	v_add_nc_u32_e32 v62, 34, v43
	v_mad_co_u64_u32 v[0:1], null, s2, v5, 0
	v_add_nc_u32_e32 v67, 0xcc, v43
	v_mul_hi_u32 v5, 0xe2c4a689, v43
	v_add_nc_u32_e32 v64, 0x66, v43
	v_add_nc_u32_e32 v65, 0x88, v43
	v_add_nc_u32_e32 v66, 0xaa, v43
	v_add_nc_u32_e32 v68, 0xee, v43
	v_add3_u32 v1, v1, v6, v61
	v_mul_hi_u32 v61, 0xe2c4a689, v67
	v_mul_hi_u32 v72, 0xe2c4a689, v65
	v_lshrrev_b32_e32 v5, 8, v5
	v_mul_hi_u32 v6, 0xe2c4a689, v66
	v_lshlrev_b64_e32 v[0:1], 3, v[0:1]
	v_mul_hi_u32 v73, 0xe2c4a689, v68
	s_delay_alu instid0(VALU_DEP_4)
	v_mul_u32_u24_e32 v5, 0x121, v5
	v_lshrrev_b32_e32 v81, 8, v61
	v_lshrrev_b32_e32 v74, 8, v72
	v_add_co_u32 v0, vcc_lo, s10, v0
	s_wait_alu 0xfffd
	v_add_co_ci_u32_e32 v79, vcc_lo, s11, v1, vcc_lo
	v_sub_nc_u32_e32 v5, v43, v5
	v_mul_u32_u24_e32 v72, 0x121, v70
	v_add_co_u32 v0, vcc_lo, v0, v3
	v_lshrrev_b32_e32 v6, 8, v6
	v_lshrrev_b32_e32 v85, 8, v73
	v_lshlrev_b32_e32 v80, 3, v5
	v_sub_nc_u32_e32 v72, v63, v72
	s_wait_alu 0xfffd
	v_add_co_ci_u32_e32 v3, vcc_lo, v79, v4, vcc_lo
	v_mul_u32_u24_e32 v75, 0x121, v74
	v_mul_u32_u24_e32 v76, 0x121, v6
	;; [unrolled: 1-line block ×4, first 2 shown]
	s_delay_alu instid0(VALU_DEP_4) | instskip(NEXT) | instid1(VALU_DEP_4)
	v_sub_nc_u32_e32 v75, v65, v75
	v_sub_nc_u32_e32 v82, v66, v76
	s_delay_alu instid0(VALU_DEP_4) | instskip(NEXT) | instid1(VALU_DEP_4)
	v_sub_nc_u32_e32 v83, v67, v77
	v_sub_nc_u32_e32 v86, v68, v78
	s_wait_loadcnt 0x6
	v_mul_f32_e32 v89, v21, v48
	v_mul_hi_u32 v69, 0xe2c4a689, v62
	s_wait_loadcnt 0x4
	v_mul_f32_e32 v91, v19, v52
	v_mul_hi_u32 v71, 0xe2c4a689, v64
	s_wait_dscnt 0x2
	v_mul_f32_e32 v48, v35, v48
	v_fma_f32 v35, v35, v47, -v89
	v_mul_f32_e32 v90, v20, v50
	v_mul_f32_e32 v50, v34, v50
	;; [unrolled: 1-line block ×3, first 2 shown]
	v_lshrrev_b32_e32 v69, 8, v69
	v_fmac_f32_e32 v48, v21, v47
	v_lshrrev_b32_e32 v71, 8, v71
	s_wait_loadcnt 0x1
	v_mul_f32_e32 v47, v30, v58
	s_wait_loadcnt 0x0
	v_dual_mul_f32 v21, v13, v60 :: v_dual_fmac_f32 v50, v20, v49
	v_mul_u32_u24_e32 v61, 0x121, v69
	v_mul_u32_u24_e32 v73, 0x121, v71
	v_fma_f32 v34, v34, v49, -v90
	v_fma_f32 v33, v33, v51, -v91
	v_fmac_f32_e32 v47, v16, v57
	v_sub_nc_u32_e32 v1, v62, v61
	v_sub_nc_u32_e32 v73, v64, v73
	v_add_co_u32 v61, vcc_lo, v0, v80
	s_wait_alu 0xfffd
	v_add_co_ci_u32_e32 v62, vcc_lo, 0, v3, vcc_lo
	v_mad_u32_u24 v1, 0x242, v69, v1
	v_mul_f32_e32 v92, v18, v54
	s_delay_alu instid0(VALU_DEP_2) | instskip(SKIP_1) | instid1(VALU_DEP_1)
	v_lshlrev_b64_e32 v[4:5], 3, v[1:2]
	v_add_nc_u32_e32 v1, 0x121, v1
	v_lshlrev_b64_e32 v[63:64], 3, v[1:2]
	v_mad_u32_u24 v1, 0x242, v70, v72
	s_delay_alu instid0(VALU_DEP_4) | instskip(SKIP_2) | instid1(VALU_DEP_3)
	v_add_co_u32 v4, vcc_lo, v0, v4
	s_wait_alu 0xfffd
	v_add_co_ci_u32_e32 v5, vcc_lo, v3, v5, vcc_lo
	v_lshlrev_b64_e32 v[65:66], 3, v[1:2]
	v_add_nc_u32_e32 v1, 0x121, v1
	v_add_co_u32 v63, vcc_lo, v0, v63
	s_wait_alu 0xfffd
	v_add_co_ci_u32_e32 v64, vcc_lo, v3, v64, vcc_lo
	s_delay_alu instid0(VALU_DEP_3) | instskip(SKIP_4) | instid1(VALU_DEP_3)
	v_lshlrev_b64_e32 v[67:68], 3, v[1:2]
	v_mad_u32_u24 v1, 0x242, v71, v73
	v_add_co_u32 v65, vcc_lo, v0, v65
	s_wait_alu 0xfffd
	v_add_co_ci_u32_e32 v66, vcc_lo, v3, v66, vcc_lo
	v_lshlrev_b64_e32 v[69:70], 3, v[1:2]
	v_add_nc_u32_e32 v1, 0x121, v1
	v_add_co_u32 v67, vcc_lo, v0, v67
	s_wait_alu 0xfffd
	v_add_co_ci_u32_e32 v68, vcc_lo, v3, v68, vcc_lo
	s_delay_alu instid0(VALU_DEP_3) | instskip(SKIP_4) | instid1(VALU_DEP_3)
	v_lshlrev_b64_e32 v[71:72], 3, v[1:2]
	v_mad_u32_u24 v1, 0x242, v74, v75
	v_add_co_u32 v69, vcc_lo, v0, v69
	s_wait_alu 0xfffd
	v_add_co_ci_u32_e32 v70, vcc_lo, v3, v70, vcc_lo
	v_lshlrev_b64_e32 v[73:74], 3, v[1:2]
	v_add_nc_u32_e32 v1, 0x121, v1
	v_add_co_u32 v71, vcc_lo, v0, v71
	s_wait_alu 0xfffd
	v_add_co_ci_u32_e32 v72, vcc_lo, v3, v72, vcc_lo
	s_delay_alu instid0(VALU_DEP_3)
	v_lshlrev_b64_e32 v[75:76], 3, v[1:2]
	v_mad_u32_u24 v1, 0x242, v6, v82
	v_mul_f32_e32 v6, v39, v46
	s_wait_dscnt 0x0
	v_mul_f32_e32 v46, v44, v46
	v_add_co_u32 v73, vcc_lo, v0, v73
	v_lshlrev_b64_e32 v[77:78], 3, v[1:2]
	v_add_nc_u32_e32 v1, 0x121, v1
	v_fma_f32 v6, v44, v45, -v6
	v_mul_f32_e32 v44, v32, v54
	s_wait_alu 0xfffd
	v_add_co_ci_u32_e32 v74, vcc_lo, v3, v74, vcc_lo
	v_lshlrev_b64_e32 v[79:80], 3, v[1:2]
	v_mad_u32_u24 v1, 0x242, v81, v83
	v_add_co_u32 v75, vcc_lo, v0, v75
	s_wait_alu 0xfffd
	v_add_co_ci_u32_e32 v76, vcc_lo, v3, v76, vcc_lo
	s_delay_alu instid0(VALU_DEP_3) | instskip(SKIP_3) | instid1(VALU_DEP_3)
	v_lshlrev_b64_e32 v[81:82], 3, v[1:2]
	v_add_nc_u32_e32 v1, 0x121, v1
	v_add_co_u32 v77, vcc_lo, v0, v77
	v_dual_fmac_f32 v46, v39, v45 :: v_dual_mul_f32 v39, v17, v56
	v_lshlrev_b64_e32 v[83:84], 3, v[1:2]
	v_mad_u32_u24 v1, 0x242, v85, v86
	v_dual_mul_f32 v45, v31, v56 :: v_dual_mul_f32 v54, v16, v58
	v_mul_f32_e32 v56, v27, v60
	s_wait_alu 0xfffd
	v_add_co_ci_u32_e32 v78, vcc_lo, v3, v78, vcc_lo
	s_delay_alu instid0(VALU_DEP_3)
	v_fmac_f32_e32 v45, v17, v55
	v_lshlrev_b64_e32 v[85:86], 3, v[1:2]
	v_add_nc_u32_e32 v1, 0x121, v1
	v_add_co_u32 v79, vcc_lo, v0, v79
	s_wait_alu 0xfffd
	v_add_co_ci_u32_e32 v80, vcc_lo, v3, v80, vcc_lo
	s_delay_alu instid0(VALU_DEP_3)
	v_lshlrev_b64_e32 v[87:88], 3, v[1:2]
	v_add_nc_u32_e32 v1, 0x110, v43
	v_dual_fmac_f32 v52, v19, v51 :: v_dual_sub_f32 v17, v26, v6
	v_fma_f32 v32, v32, v53, -v92
	v_dual_fmac_f32 v44, v18, v53 :: v_dual_sub_f32 v19, v29, v35
	v_fma_f32 v27, v27, v59, -v21
	v_dual_fmac_f32 v56, v13, v59 :: v_dual_sub_f32 v21, v28, v34
	v_add_co_u32 v81, vcc_lo, v0, v81
	v_fma_f32 v49, v30, v57, -v54
	s_wait_alu 0xfffd
	v_add_co_ci_u32_e32 v82, vcc_lo, v3, v82, vcc_lo
	v_add_co_u32 v83, vcc_lo, v0, v83
	v_fma_f32 v39, v31, v55, -v39
	v_dual_sub_f32 v16, v12, v46 :: v_dual_sub_f32 v31, v25, v33
	v_sub_f32_e32 v18, v15, v48
	v_dual_sub_f32 v20, v14, v50 :: v_dual_sub_f32 v33, v24, v32
	v_sub_f32_e32 v30, v11, v52
	;; [unrolled: 2-line block ×3, first 2 shown]
	v_sub_f32_e32 v47, v42, v27
	v_sub_f32_e32 v46, v38, v56
	s_wait_alu 0xfffd
	v_add_co_ci_u32_e32 v84, vcc_lo, v3, v84, vcc_lo
	v_add_co_u32 v85, vcc_lo, v0, v85
	v_sub_f32_e32 v34, v9, v45
	v_sub_f32_e32 v45, v22, v49
	s_wait_alu 0xfffd
	v_add_co_ci_u32_e32 v86, vcc_lo, v3, v86, vcc_lo
	v_cmp_gt_u32_e32 vcc_lo, 0x121, v1
	v_fma_f32 v13, v26, 2.0, -v17
	v_fma_f32 v27, v29, 2.0, -v19
	;; [unrolled: 1-line block ×11, first 2 shown]
	v_add_co_u32 v87, s0, v0, v87
	v_fma_f32 v23, v23, 2.0, -v35
	v_fma_f32 v22, v9, 2.0, -v34
	s_wait_alu 0xf1fe
	v_add_co_ci_u32_e64 v88, s0, v3, v88, s0
	v_fma_f32 v12, v12, 2.0, -v16
	v_fma_f32 v14, v14, 2.0, -v20
	;; [unrolled: 1-line block ×3, first 2 shown]
	s_clause 0xf
	global_store_b64 v[61:62], v[24:25], off
	global_store_b64 v[61:62], v[46:47], off offset:2312
	global_store_b64 v[4:5], v[38:39], off
	global_store_b64 v[63:64], v[44:45], off
	;; [unrolled: 1-line block ×14, first 2 shown]
	s_and_b32 exec_lo, exec_lo, vcc_lo
	s_cbranch_execz .LBB0_19
; %bb.18:
	v_mov_b32_e32 v8, v2
	s_delay_alu instid0(VALU_DEP_1) | instskip(NEXT) | instid1(VALU_DEP_1)
	v_lshlrev_b64_e32 v[4:5], 3, v[7:8]
	v_add_co_u32 v4, vcc_lo, s4, v4
	s_wait_alu 0xfffd
	s_delay_alu instid0(VALU_DEP_2)
	v_add_co_ci_u32_e32 v5, vcc_lo, s5, v5, vcc_lo
	global_load_b64 v[4:5], v[4:5], off offset:2176
	s_wait_loadcnt 0x0
	v_mul_f32_e32 v7, v41, v5
	v_mul_f32_e32 v8, v37, v5
	v_lshlrev_b64_e32 v[5:6], 3, v[1:2]
	v_add_nc_u32_e32 v1, 0x231, v43
	s_delay_alu instid0(VALU_DEP_4) | instskip(NEXT) | instid1(VALU_DEP_4)
	v_fmac_f32_e32 v7, v37, v4
	v_fma_f32 v4, v41, v4, -v8
	s_delay_alu instid0(VALU_DEP_3) | instskip(NEXT) | instid1(VALU_DEP_3)
	v_lshlrev_b64_e32 v[1:2], 3, v[1:2]
	v_sub_f32_e32 v7, v36, v7
	s_delay_alu instid0(VALU_DEP_3)
	v_sub_f32_e32 v8, v40, v4
	v_add_co_u32 v4, vcc_lo, v0, v5
	s_wait_alu 0xfffd
	v_add_co_ci_u32_e32 v5, vcc_lo, v3, v6, vcc_lo
	v_add_co_u32 v0, vcc_lo, v0, v1
	v_fma_f32 v9, v36, 2.0, -v7
	v_fma_f32 v10, v40, 2.0, -v8
	s_wait_alu 0xfffd
	v_add_co_ci_u32_e32 v1, vcc_lo, v3, v2, vcc_lo
	s_clause 0x1
	global_store_b64 v[4:5], v[9:10], off
	global_store_b64 v[0:1], v[7:8], off
.LBB0_19:
	s_nop 0
	s_sendmsg sendmsg(MSG_DEALLOC_VGPRS)
	s_endpgm
	.section	.rodata,"a",@progbits
	.p2align	6, 0x0
	.amdhsa_kernel fft_rtc_back_len578_factors_17_17_2_wgs_238_tpt_34_halfLds_sp_op_CI_CI_unitstride_sbrr_dirReg
		.amdhsa_group_segment_fixed_size 0
		.amdhsa_private_segment_fixed_size 0
		.amdhsa_kernarg_size 104
		.amdhsa_user_sgpr_count 2
		.amdhsa_user_sgpr_dispatch_ptr 0
		.amdhsa_user_sgpr_queue_ptr 0
		.amdhsa_user_sgpr_kernarg_segment_ptr 1
		.amdhsa_user_sgpr_dispatch_id 0
		.amdhsa_user_sgpr_private_segment_size 0
		.amdhsa_wavefront_size32 1
		.amdhsa_uses_dynamic_stack 0
		.amdhsa_enable_private_segment 0
		.amdhsa_system_sgpr_workgroup_id_x 1
		.amdhsa_system_sgpr_workgroup_id_y 0
		.amdhsa_system_sgpr_workgroup_id_z 0
		.amdhsa_system_sgpr_workgroup_info 0
		.amdhsa_system_vgpr_workitem_id 0
		.amdhsa_next_free_vgpr 93
		.amdhsa_next_free_sgpr 39
		.amdhsa_reserve_vcc 1
		.amdhsa_float_round_mode_32 0
		.amdhsa_float_round_mode_16_64 0
		.amdhsa_float_denorm_mode_32 3
		.amdhsa_float_denorm_mode_16_64 3
		.amdhsa_fp16_overflow 0
		.amdhsa_workgroup_processor_mode 1
		.amdhsa_memory_ordered 1
		.amdhsa_forward_progress 0
		.amdhsa_round_robin_scheduling 0
		.amdhsa_exception_fp_ieee_invalid_op 0
		.amdhsa_exception_fp_denorm_src 0
		.amdhsa_exception_fp_ieee_div_zero 0
		.amdhsa_exception_fp_ieee_overflow 0
		.amdhsa_exception_fp_ieee_underflow 0
		.amdhsa_exception_fp_ieee_inexact 0
		.amdhsa_exception_int_div_zero 0
	.end_amdhsa_kernel
	.text
.Lfunc_end0:
	.size	fft_rtc_back_len578_factors_17_17_2_wgs_238_tpt_34_halfLds_sp_op_CI_CI_unitstride_sbrr_dirReg, .Lfunc_end0-fft_rtc_back_len578_factors_17_17_2_wgs_238_tpt_34_halfLds_sp_op_CI_CI_unitstride_sbrr_dirReg
                                        ; -- End function
	.section	.AMDGPU.csdata,"",@progbits
; Kernel info:
; codeLenInByte = 15404
; NumSgprs: 41
; NumVgprs: 93
; ScratchSize: 0
; MemoryBound: 0
; FloatMode: 240
; IeeeMode: 1
; LDSByteSize: 0 bytes/workgroup (compile time only)
; SGPRBlocks: 5
; VGPRBlocks: 11
; NumSGPRsForWavesPerEU: 41
; NumVGPRsForWavesPerEU: 93
; Occupancy: 16
; WaveLimiterHint : 1
; COMPUTE_PGM_RSRC2:SCRATCH_EN: 0
; COMPUTE_PGM_RSRC2:USER_SGPR: 2
; COMPUTE_PGM_RSRC2:TRAP_HANDLER: 0
; COMPUTE_PGM_RSRC2:TGID_X_EN: 1
; COMPUTE_PGM_RSRC2:TGID_Y_EN: 0
; COMPUTE_PGM_RSRC2:TGID_Z_EN: 0
; COMPUTE_PGM_RSRC2:TIDIG_COMP_CNT: 0
	.text
	.p2alignl 7, 3214868480
	.fill 96, 4, 3214868480
	.type	__hip_cuid_f90f2ddeafd9ccb7,@object ; @__hip_cuid_f90f2ddeafd9ccb7
	.section	.bss,"aw",@nobits
	.globl	__hip_cuid_f90f2ddeafd9ccb7
__hip_cuid_f90f2ddeafd9ccb7:
	.byte	0                               ; 0x0
	.size	__hip_cuid_f90f2ddeafd9ccb7, 1

	.ident	"AMD clang version 19.0.0git (https://github.com/RadeonOpenCompute/llvm-project roc-6.4.0 25133 c7fe45cf4b819c5991fe208aaa96edf142730f1d)"
	.section	".note.GNU-stack","",@progbits
	.addrsig
	.addrsig_sym __hip_cuid_f90f2ddeafd9ccb7
	.amdgpu_metadata
---
amdhsa.kernels:
  - .args:
      - .actual_access:  read_only
        .address_space:  global
        .offset:         0
        .size:           8
        .value_kind:     global_buffer
      - .offset:         8
        .size:           8
        .value_kind:     by_value
      - .actual_access:  read_only
        .address_space:  global
        .offset:         16
        .size:           8
        .value_kind:     global_buffer
      - .actual_access:  read_only
        .address_space:  global
        .offset:         24
        .size:           8
        .value_kind:     global_buffer
      - .actual_access:  read_only
        .address_space:  global
        .offset:         32
        .size:           8
        .value_kind:     global_buffer
      - .offset:         40
        .size:           8
        .value_kind:     by_value
      - .actual_access:  read_only
        .address_space:  global
        .offset:         48
        .size:           8
        .value_kind:     global_buffer
      - .actual_access:  read_only
        .address_space:  global
        .offset:         56
        .size:           8
        .value_kind:     global_buffer
      - .offset:         64
        .size:           4
        .value_kind:     by_value
      - .actual_access:  read_only
        .address_space:  global
        .offset:         72
        .size:           8
        .value_kind:     global_buffer
      - .actual_access:  read_only
        .address_space:  global
        .offset:         80
        .size:           8
        .value_kind:     global_buffer
      - .actual_access:  read_only
        .address_space:  global
        .offset:         88
        .size:           8
        .value_kind:     global_buffer
      - .actual_access:  write_only
        .address_space:  global
        .offset:         96
        .size:           8
        .value_kind:     global_buffer
    .group_segment_fixed_size: 0
    .kernarg_segment_align: 8
    .kernarg_segment_size: 104
    .language:       OpenCL C
    .language_version:
      - 2
      - 0
    .max_flat_workgroup_size: 238
    .name:           fft_rtc_back_len578_factors_17_17_2_wgs_238_tpt_34_halfLds_sp_op_CI_CI_unitstride_sbrr_dirReg
    .private_segment_fixed_size: 0
    .sgpr_count:     41
    .sgpr_spill_count: 0
    .symbol:         fft_rtc_back_len578_factors_17_17_2_wgs_238_tpt_34_halfLds_sp_op_CI_CI_unitstride_sbrr_dirReg.kd
    .uniform_work_group_size: 1
    .uses_dynamic_stack: false
    .vgpr_count:     93
    .vgpr_spill_count: 0
    .wavefront_size: 32
    .workgroup_processor_mode: 1
amdhsa.target:   amdgcn-amd-amdhsa--gfx1201
amdhsa.version:
  - 1
  - 2
...

	.end_amdgpu_metadata
